;; amdgpu-corpus repo=huggingface/hf-rocm-kernels kind=compiled arch=gfx1100 opt=O3
	.text
	.amdgcn_target "amdgcn-amd-amdhsa--gfx1100"
	.amdhsa_code_object_version 6
	.section	.text._Z24_residual_rms_vectorizedI7__half2Lb0EEvPK6__halfPS1_S3_PKfPT_S4_fii,"axG",@progbits,_Z24_residual_rms_vectorizedI7__half2Lb0EEvPK6__halfPS1_S3_PKfPT_S4_fii,comdat
	.protected	_Z24_residual_rms_vectorizedI7__half2Lb0EEvPK6__halfPS1_S3_PKfPT_S4_fii ; -- Begin function _Z24_residual_rms_vectorizedI7__half2Lb0EEvPK6__halfPS1_S3_PKfPT_S4_fii
	.globl	_Z24_residual_rms_vectorizedI7__half2Lb0EEvPK6__halfPS1_S3_PKfPT_S4_fii
	.p2align	8
	.type	_Z24_residual_rms_vectorizedI7__half2Lb0EEvPK6__halfPS1_S3_PKfPT_S4_fii,@function
_Z24_residual_rms_vectorizedI7__half2Lb0EEvPK6__halfPS1_S3_PKfPT_S4_fii: ; @_Z24_residual_rms_vectorizedI7__half2Lb0EEvPK6__halfPS1_S3_PKfPT_S4_fii
; %bb.0:
	s_clause 0x1
	s_load_b32 s2, s[0:1], 0x4c
	s_load_b64 s[10:11], s[0:1], 0x30
	v_lshlrev_b32_e32 v7, 4, v0
	s_load_b64 s[8:9], s[0:1], 0x20
	s_waitcnt lgkmcnt(0)
	s_and_b32 s3, s2, 0xffff
	s_delay_alu instid0(SALU_CYCLE_1) | instskip(NEXT) | instid1(SALU_CYCLE_1)
	s_lshl_b32 s2, s3, 3
	v_cvt_f32_u32_e32 v1, s2
	s_sub_i32 s4, 0, s2
	s_delay_alu instid0(VALU_DEP_1) | instskip(SKIP_2) | instid1(VALU_DEP_1)
	v_rcp_iflag_f32_e32 v1, v1
	s_waitcnt_depctr 0xfff
	v_mul_f32_e32 v1, 0x4f7ffffe, v1
	v_cvt_u32_f32_e32 v2, v1
	v_lshlrev_b32_e32 v1, 3, v0
	s_delay_alu instid0(VALU_DEP_2) | instskip(NEXT) | instid1(VALU_DEP_2)
	v_mul_lo_u32 v3, s4, v2
	v_not_b32_e32 v4, v1
	s_load_b128 s[4:7], s[0:1], 0x8
	s_delay_alu instid0(VALU_DEP_1) | instskip(NEXT) | instid1(VALU_DEP_3)
	v_add3_u32 v4, s2, s11, v4
	v_mul_hi_u32 v3, v2, v3
	s_delay_alu instid0(VALU_DEP_1) | instskip(NEXT) | instid1(VALU_DEP_1)
	v_add_nc_u32_e32 v2, v2, v3
	v_mul_hi_u32 v2, v4, v2
	s_delay_alu instid0(VALU_DEP_1) | instskip(NEXT) | instid1(VALU_DEP_1)
	v_mul_lo_u32 v3, v2, s2
	v_sub_nc_u32_e32 v3, v4, v3
	s_delay_alu instid0(VALU_DEP_1) | instskip(SKIP_1) | instid1(VALU_DEP_2)
	v_subrev_nc_u32_e32 v5, s2, v3
	v_cmp_le_u32_e32 vcc_lo, s2, v3
	v_dual_cndmask_b32 v5, v3, v5 :: v_dual_add_nc_u32 v4, 1, v2
	s_delay_alu instid0(VALU_DEP_1) | instskip(NEXT) | instid1(VALU_DEP_2)
	v_cndmask_b32_e32 v4, v2, v4, vcc_lo
	v_cmp_le_u32_e32 vcc_lo, s2, v5
	s_delay_alu instid0(VALU_DEP_2) | instskip(NEXT) | instid1(VALU_DEP_1)
	v_add_nc_u32_e32 v6, 1, v4
	v_cndmask_b32_e32 v6, v4, v6, vcc_lo
	v_mad_u64_u32 v[2:3], null, s15, s11, v[1:2]
	v_mov_b32_e32 v3, 0
	s_mov_b32 s15, 0
	s_delay_alu instid0(VALU_DEP_3) | instskip(NEXT) | instid1(VALU_DEP_2)
	v_cmp_lt_i32_e64 s2, 0, v6
	v_lshlrev_b64 v[4:5], 1, v[2:3]
	s_delay_alu instid0(VALU_DEP_2)
	s_and_saveexec_b32 s14, s2
	s_cbranch_execz .LBB0_4
; %bb.1:
	s_load_b64 s[0:1], s[0:1], 0x0
	v_dual_mov_b32 v3, 0 :: v_dual_mov_b32 v8, v7
	s_waitcnt lgkmcnt(0)
	s_mov_b64 s[12:13], s[4:5]
	s_lshl_b32 s16, s3, 4
	s_mov_b32 s17, 0
	s_set_inst_prefetch_distance 0x1
	.p2align	6
.LBB0_2:                                ; =>This Inner Loop Header: Depth=1
	v_add_co_u32 v9, vcc_lo, s0, v4
	v_add_co_ci_u32_e32 v10, vcc_lo, s1, v5, vcc_lo
	v_add_co_u32 v13, vcc_lo, s12, v4
	v_add_co_ci_u32_e32 v14, vcc_lo, s13, v5, vcc_lo
	s_add_i32 s17, s17, 1
	global_load_b128 v[9:12], v[9:10], off
	global_load_b128 v[13:16], v[13:14], off
	v_cmp_ge_i32_e32 vcc_lo, s17, v6
	s_add_u32 s0, s0, s16
	s_addc_u32 s1, s1, 0
	s_add_u32 s12, s12, s16
	s_addc_u32 s13, s13, 0
	s_or_b32 s15, vcc_lo, s15
	s_waitcnt vmcnt(0)
	v_pk_add_f16 v9, v9, v13
	v_pk_add_f16 v10, v10, v14
	v_pk_add_f16 v11, v11, v15
	v_pk_add_f16 v12, v12, v16
	s_delay_alu instid0(VALU_DEP_4) | instskip(SKIP_3) | instid1(VALU_DEP_1)
	v_fma_mix_f32 v3, v9, v9, v3 op_sel_hi:[1,1,0]
	ds_store_b128 v8, v[9:12]
	v_add_nc_u32_e32 v8, s16, v8
	v_fma_mix_f32 v3, v9, v9, v3 op_sel:[1,1,0] op_sel_hi:[1,1,0]
	v_fma_mix_f32 v3, v10, v10, v3 op_sel_hi:[1,1,0]
	s_delay_alu instid0(VALU_DEP_1) | instskip(NEXT) | instid1(VALU_DEP_1)
	v_fma_mix_f32 v3, v10, v10, v3 op_sel:[1,1,0] op_sel_hi:[1,1,0]
	v_fma_mix_f32 v3, v11, v11, v3 op_sel_hi:[1,1,0]
	s_delay_alu instid0(VALU_DEP_1) | instskip(NEXT) | instid1(VALU_DEP_1)
	v_fma_mix_f32 v3, v11, v11, v3 op_sel:[1,1,0] op_sel_hi:[1,1,0]
	v_fma_mix_f32 v3, v12, v12, v3 op_sel_hi:[1,1,0]
	s_delay_alu instid0(VALU_DEP_1)
	v_fma_mix_f32 v3, v12, v12, v3 op_sel:[1,1,0] op_sel_hi:[1,1,0]
	s_and_not1_b32 exec_lo, exec_lo, s15
	s_cbranch_execnz .LBB0_2
; %bb.3:
	s_set_inst_prefetch_distance 0x2
	s_or_b32 exec_lo, exec_lo, s15
.LBB0_4:
	s_delay_alu instid0(SALU_CYCLE_1) | instskip(SKIP_1) | instid1(VALU_DEP_1)
	s_or_b32 exec_lo, exec_lo, s14
	v_cvt_f32_i32_e32 v10, s11
	v_div_scale_f32 v9, null, v10, v10, v3
	v_div_scale_f32 v12, vcc_lo, v3, v10, v3
	s_delay_alu instid0(VALU_DEP_2) | instskip(SKIP_2) | instid1(VALU_DEP_1)
	v_rcp_f32_e32 v11, v9
	s_waitcnt_depctr 0xfff
	v_fma_f32 v8, -v9, v11, 1.0
	v_fmac_f32_e32 v11, v8, v11
	s_delay_alu instid0(VALU_DEP_1) | instskip(NEXT) | instid1(VALU_DEP_1)
	v_mul_f32_e32 v13, v12, v11
	v_fma_f32 v8, -v9, v13, v12
	s_delay_alu instid0(VALU_DEP_1) | instskip(SKIP_1) | instid1(VALU_DEP_2)
	v_fmac_f32_e32 v13, v8, v11
	v_mbcnt_lo_u32_b32 v8, -1, 0
	v_fma_f32 v9, -v9, v13, v12
	s_delay_alu instid0(VALU_DEP_2) | instskip(NEXT) | instid1(VALU_DEP_2)
	v_cmp_ne_u32_e64 s0, 31, v8
	v_div_fmas_f32 v11, v9, v11, v13
	s_delay_alu instid0(VALU_DEP_2) | instskip(SKIP_2) | instid1(VALU_DEP_3)
	v_add_co_ci_u32_e64 v12, s0, 0, v8, s0
	v_cmp_gt_u32_e32 vcc_lo, 30, v8
	s_mov_b32 s0, exec_lo
	v_div_fixup_f32 v11, v11, v10, v3
	s_delay_alu instid0(VALU_DEP_3)
	v_lshlrev_b32_e32 v9, 2, v12
	v_and_b32_e32 v3, 0x3e0, v0
	v_cndmask_b32_e64 v12, 0, 1, vcc_lo
	ds_bpermute_b32 v10, v9, v11
	v_sub_nc_u32_e64 v18, s3, v3 clamp
	v_add_nc_u32_e32 v3, 1, v8
	v_lshlrev_b32_e32 v12, 1, v12
	s_delay_alu instid0(VALU_DEP_2) | instskip(SKIP_2) | instid1(VALU_DEP_3)
	v_cmp_lt_u32_e32 vcc_lo, v3, v18
	s_waitcnt lgkmcnt(0)
	v_add_f32_e32 v13, v11, v10
	v_add_lshl_u32 v10, v12, v8, 2
	s_delay_alu instid0(VALU_DEP_2) | instskip(SKIP_3) | instid1(VALU_DEP_1)
	v_cndmask_b32_e32 v13, v11, v13, vcc_lo
	v_cmp_gt_u32_e32 vcc_lo, 28, v8
	ds_bpermute_b32 v12, v10, v13
	v_cndmask_b32_e64 v11, 0, 1, vcc_lo
	v_lshlrev_b32_e32 v14, 2, v11
	v_add_nc_u32_e32 v11, 2, v8
	s_delay_alu instid0(VALU_DEP_1) | instskip(SKIP_3) | instid1(VALU_DEP_2)
	v_cmp_lt_u32_e32 vcc_lo, v11, v18
	s_waitcnt lgkmcnt(0)
	v_add_f32_e32 v15, v13, v12
	v_add_lshl_u32 v12, v14, v8, 2
	v_cndmask_b32_e32 v15, v13, v15, vcc_lo
	v_cmp_gt_u32_e32 vcc_lo, 24, v8
	ds_bpermute_b32 v14, v12, v15
	v_cndmask_b32_e64 v13, 0, 1, vcc_lo
	s_delay_alu instid0(VALU_DEP_1) | instskip(SKIP_1) | instid1(VALU_DEP_1)
	v_lshlrev_b32_e32 v16, 3, v13
	v_add_nc_u32_e32 v13, 4, v8
	v_cmp_lt_u32_e32 vcc_lo, v13, v18
	s_waitcnt lgkmcnt(0)
	v_add_f32_e32 v17, v15, v14
	v_add_lshl_u32 v14, v16, v8, 2
	s_delay_alu instid0(VALU_DEP_2) | instskip(SKIP_3) | instid1(VALU_DEP_1)
	v_cndmask_b32_e32 v17, v15, v17, vcc_lo
	v_cmp_gt_u32_e32 vcc_lo, 16, v8
	ds_bpermute_b32 v16, v14, v17
	v_cndmask_b32_e64 v15, 0, 1, vcc_lo
	v_lshlrev_b32_e32 v19, 4, v15
	v_add_nc_u32_e32 v15, 8, v8
	s_delay_alu instid0(VALU_DEP_1) | instskip(SKIP_3) | instid1(VALU_DEP_2)
	v_cmp_lt_u32_e32 vcc_lo, v15, v18
	s_waitcnt lgkmcnt(0)
	v_add_f32_e32 v20, v17, v16
	v_add_lshl_u32 v16, v19, v8, 2
	v_cndmask_b32_e32 v19, v17, v20, vcc_lo
	v_add_nc_u32_e32 v17, 16, v8
	ds_bpermute_b32 v20, v16, v19
	v_cmp_lt_u32_e32 vcc_lo, v17, v18
	s_waitcnt lgkmcnt(0)
	v_add_f32_e32 v20, v19, v20
	s_delay_alu instid0(VALU_DEP_1)
	v_cndmask_b32_e32 v18, v19, v20, vcc_lo
	v_cmpx_eq_u32_e32 0, v8
	s_cbranch_execz .LBB0_6
; %bb.5:
	v_lshrrev_b32_e32 v19, 3, v0
	s_delay_alu instid0(VALU_DEP_1)
	v_and_b32_e32 v19, 0x7c, v19
	ds_store_b32 v19, v18 offset:32768
.LBB0_6:
	s_or_b32 exec_lo, exec_lo, s0
	s_delay_alu instid0(SALU_CYCLE_1)
	s_mov_b32 s0, exec_lo
	s_waitcnt lgkmcnt(0)
	s_barrier
	buffer_gl0_inv
	v_cmpx_gt_u32_e32 32, v0
	s_cbranch_execz .LBB0_8
; %bb.7:
	v_lshlrev_b32_e32 v8, 2, v8
	s_add_i32 s1, s3, 31
	s_delay_alu instid0(SALU_CYCLE_1) | instskip(NEXT) | instid1(SALU_CYCLE_1)
	s_lshr_b32 s1, s1, 5
	v_cmp_gt_u32_e32 vcc_lo, s1, v3
	ds_load_b32 v8, v8 offset:32768
	s_waitcnt lgkmcnt(0)
	ds_bpermute_b32 v9, v9, v8
	s_waitcnt lgkmcnt(0)
	v_add_f32_e32 v9, v8, v9
	s_delay_alu instid0(VALU_DEP_1) | instskip(SKIP_4) | instid1(VALU_DEP_1)
	v_cndmask_b32_e32 v3, v8, v9, vcc_lo
	v_cmp_gt_u32_e32 vcc_lo, s1, v11
	ds_bpermute_b32 v8, v10, v3
	s_waitcnt lgkmcnt(0)
	v_add_f32_e32 v8, v3, v8
	v_cndmask_b32_e32 v3, v3, v8, vcc_lo
	v_cmp_gt_u32_e32 vcc_lo, s1, v13
	ds_bpermute_b32 v8, v12, v3
	s_waitcnt lgkmcnt(0)
	v_add_f32_e32 v8, v3, v8
	s_delay_alu instid0(VALU_DEP_1) | instskip(SKIP_4) | instid1(VALU_DEP_1)
	v_cndmask_b32_e32 v3, v3, v8, vcc_lo
	v_cmp_gt_u32_e32 vcc_lo, s1, v15
	ds_bpermute_b32 v8, v14, v3
	s_waitcnt lgkmcnt(0)
	v_add_f32_e32 v8, v3, v8
	v_cndmask_b32_e32 v3, v3, v8, vcc_lo
	v_cmp_gt_u32_e32 vcc_lo, s1, v17
	ds_bpermute_b32 v8, v16, v3
	s_waitcnt lgkmcnt(0)
	v_add_f32_e32 v8, v3, v8
	s_delay_alu instid0(VALU_DEP_1)
	v_cndmask_b32_e32 v18, v3, v8, vcc_lo
.LBB0_8:
	s_or_b32 exec_lo, exec_lo, s0
	s_delay_alu instid0(SALU_CYCLE_1)
	s_mov_b32 s0, exec_lo
	v_cmpx_eq_u32_e32 0, v0
	s_cbranch_execz .LBB0_10
; %bb.9:
	v_add_f32_e32 v0, s10, v18
	s_delay_alu instid0(VALU_DEP_1) | instskip(SKIP_1) | instid1(VALU_DEP_2)
	v_mul_f32_e32 v3, 0x4b800000, v0
	v_cmp_gt_f32_e32 vcc_lo, 0x800000, v0
	v_cndmask_b32_e32 v0, v0, v3, vcc_lo
	s_delay_alu instid0(VALU_DEP_1) | instskip(SKIP_2) | instid1(VALU_DEP_1)
	v_rsq_f32_e32 v0, v0
	s_waitcnt_depctr 0xfff
	v_mul_f32_e32 v3, 0x45800000, v0
	v_dual_cndmask_b32 v0, v0, v3 :: v_dual_mov_b32 v3, 0
	ds_store_b32 v3, v0 offset:32896
.LBB0_10:
	s_or_b32 exec_lo, exec_lo, s0
	s_waitcnt lgkmcnt(0)
	s_barrier
	buffer_gl0_inv
	s_and_saveexec_b32 s0, s2
	s_cbranch_execz .LBB0_13
; %bb.11:
	v_mov_b32_e32 v9, 0
	v_lshrrev_b32_e32 v8, 1, v2
	v_lshlrev_b32_e32 v3, 1, v1
	v_add_co_u32 v1, vcc_lo, s4, v4
	ds_load_b32 v0, v9 offset:32896
	v_lshlrev_b64 v[8:9], 2, v[8:9]
	v_add_co_ci_u32_e32 v2, vcc_lo, s5, v5, vcc_lo
	v_add_co_u32 v3, s0, s6, v3
	s_delay_alu instid0(VALU_DEP_1) | instskip(NEXT) | instid1(VALU_DEP_4)
	v_add_co_ci_u32_e64 v4, null, s7, 0, s0
	v_add_co_u32 v5, vcc_lo, s8, v8
	v_add_co_ci_u32_e32 v8, vcc_lo, s9, v9, vcc_lo
	s_mov_b32 s2, 0
	s_lshl_b32 s3, s3, 4
	s_mov_b64 s[0:1], 0
	s_mov_b32 s4, 0
.LBB0_12:                               ; =>This Inner Loop Header: Depth=1
	v_add_co_u32 v9, vcc_lo, v3, s0
	v_add_co_ci_u32_e32 v10, vcc_lo, s1, v4, vcc_lo
	ds_load_b128 v[13:16], v7
	v_add_co_u32 v17, vcc_lo, v1, s0
	global_load_b128 v[9:12], v[9:10], off
	v_add_co_ci_u32_e32 v18, vcc_lo, s1, v2, vcc_lo
	v_add_co_u32 v19, vcc_lo, v5, s0
	s_add_i32 s4, s4, 1
	v_add_co_ci_u32_e32 v20, vcc_lo, s1, v8, vcc_lo
	v_cmp_ge_i32_e32 vcc_lo, s4, v6
	v_add_nc_u32_e32 v7, s3, v7
	s_add_u32 s0, s0, s3
	s_addc_u32 s1, s1, 0
	s_or_b32 s2, vcc_lo, s2
	s_waitcnt lgkmcnt(0)
	v_fma_mixlo_f16 v21, v0, v13, 0 op_sel_hi:[0,1,0]
	v_fma_mixlo_f16 v22, v0, v14, 0 op_sel_hi:[0,1,0]
	;; [unrolled: 1-line block ×4, first 2 shown]
	s_delay_alu instid0(VALU_DEP_4) | instskip(NEXT) | instid1(VALU_DEP_4)
	v_fma_mixhi_f16 v21, v0, v13, 0 op_sel:[0,1,0] op_sel_hi:[0,1,0]
	v_fma_mixhi_f16 v22, v0, v14, 0 op_sel:[0,1,0] op_sel_hi:[0,1,0]
	s_delay_alu instid0(VALU_DEP_4) | instskip(NEXT) | instid1(VALU_DEP_4)
	v_fma_mixhi_f16 v23, v0, v15, 0 op_sel:[0,1,0] op_sel_hi:[0,1,0]
	v_fma_mixhi_f16 v24, v0, v16, 0 op_sel:[0,1,0] op_sel_hi:[0,1,0]
	s_waitcnt vmcnt(0)
	v_pk_mul_f16 v9, v9, v21
	v_pk_mul_f16 v10, v10, v22
	;; [unrolled: 1-line block ×4, first 2 shown]
	global_store_b128 v[17:18], v[13:16], off
	global_store_b128 v[19:20], v[9:12], off
	s_and_not1_b32 exec_lo, exec_lo, s2
	s_cbranch_execnz .LBB0_12
.LBB0_13:
	s_nop 0
	s_sendmsg sendmsg(MSG_DEALLOC_VGPRS)
	s_endpgm
	.section	.rodata,"a",@progbits
	.p2align	6, 0x0
	.amdhsa_kernel _Z24_residual_rms_vectorizedI7__half2Lb0EEvPK6__halfPS1_S3_PKfPT_S4_fii
		.amdhsa_group_segment_fixed_size 32900
		.amdhsa_private_segment_fixed_size 0
		.amdhsa_kernarg_size 320
		.amdhsa_user_sgpr_count 15
		.amdhsa_user_sgpr_dispatch_ptr 0
		.amdhsa_user_sgpr_queue_ptr 0
		.amdhsa_user_sgpr_kernarg_segment_ptr 1
		.amdhsa_user_sgpr_dispatch_id 0
		.amdhsa_user_sgpr_private_segment_size 0
		.amdhsa_wavefront_size32 1
		.amdhsa_uses_dynamic_stack 0
		.amdhsa_enable_private_segment 0
		.amdhsa_system_sgpr_workgroup_id_x 1
		.amdhsa_system_sgpr_workgroup_id_y 0
		.amdhsa_system_sgpr_workgroup_id_z 0
		.amdhsa_system_sgpr_workgroup_info 0
		.amdhsa_system_vgpr_workitem_id 0
		.amdhsa_next_free_vgpr 25
		.amdhsa_next_free_sgpr 18
		.amdhsa_reserve_vcc 1
		.amdhsa_float_round_mode_32 0
		.amdhsa_float_round_mode_16_64 0
		.amdhsa_float_denorm_mode_32 3
		.amdhsa_float_denorm_mode_16_64 3
		.amdhsa_dx10_clamp 1
		.amdhsa_ieee_mode 1
		.amdhsa_fp16_overflow 0
		.amdhsa_workgroup_processor_mode 1
		.amdhsa_memory_ordered 1
		.amdhsa_forward_progress 0
		.amdhsa_shared_vgpr_count 0
		.amdhsa_exception_fp_ieee_invalid_op 0
		.amdhsa_exception_fp_denorm_src 0
		.amdhsa_exception_fp_ieee_div_zero 0
		.amdhsa_exception_fp_ieee_overflow 0
		.amdhsa_exception_fp_ieee_underflow 0
		.amdhsa_exception_fp_ieee_inexact 0
		.amdhsa_exception_int_div_zero 0
	.end_amdhsa_kernel
	.section	.text._Z24_residual_rms_vectorizedI7__half2Lb0EEvPK6__halfPS1_S3_PKfPT_S4_fii,"axG",@progbits,_Z24_residual_rms_vectorizedI7__half2Lb0EEvPK6__halfPS1_S3_PKfPT_S4_fii,comdat
.Lfunc_end0:
	.size	_Z24_residual_rms_vectorizedI7__half2Lb0EEvPK6__halfPS1_S3_PKfPT_S4_fii, .Lfunc_end0-_Z24_residual_rms_vectorizedI7__half2Lb0EEvPK6__halfPS1_S3_PKfPT_S4_fii
                                        ; -- End function
	.section	.AMDGPU.csdata,"",@progbits
; Kernel info:
; codeLenInByte = 1580
; NumSgprs: 20
; NumVgprs: 25
; ScratchSize: 0
; MemoryBound: 0
; FloatMode: 240
; IeeeMode: 1
; LDSByteSize: 32900 bytes/workgroup (compile time only)
; SGPRBlocks: 2
; VGPRBlocks: 3
; NumSGPRsForWavesPerEU: 20
; NumVGPRsForWavesPerEU: 25
; Occupancy: 16
; WaveLimiterHint : 0
; COMPUTE_PGM_RSRC2:SCRATCH_EN: 0
; COMPUTE_PGM_RSRC2:USER_SGPR: 15
; COMPUTE_PGM_RSRC2:TRAP_HANDLER: 0
; COMPUTE_PGM_RSRC2:TGID_X_EN: 1
; COMPUTE_PGM_RSRC2:TGID_Y_EN: 0
; COMPUTE_PGM_RSRC2:TGID_Z_EN: 0
; COMPUTE_PGM_RSRC2:TIDIG_COMP_CNT: 0
	.section	.text._Z20_residual_rms_scalarI6__halfLb0EEvPKS0_PS0_S2_PKfPT_S3_fii,"axG",@progbits,_Z20_residual_rms_scalarI6__halfLb0EEvPKS0_PS0_S2_PKfPT_S3_fii,comdat
	.protected	_Z20_residual_rms_scalarI6__halfLb0EEvPKS0_PS0_S2_PKfPT_S3_fii ; -- Begin function _Z20_residual_rms_scalarI6__halfLb0EEvPKS0_PS0_S2_PKfPT_S3_fii
	.globl	_Z20_residual_rms_scalarI6__halfLb0EEvPKS0_PS0_S2_PKfPT_S3_fii
	.p2align	8
	.type	_Z20_residual_rms_scalarI6__halfLb0EEvPKS0_PS0_S2_PKfPT_S3_fii,@function
_Z20_residual_rms_scalarI6__halfLb0EEvPKS0_PS0_S2_PKfPT_S3_fii: ; @_Z20_residual_rms_scalarI6__halfLb0EEvPKS0_PS0_S2_PKfPT_S3_fii
; %bb.0:
	s_clause 0x1
	s_load_b64 s[4:5], s[0:1], 0x30
	s_load_b64 s[6:7], s[0:1], 0x8
	s_mov_b32 s3, 0
                                        ; implicit-def: $sgpr17
	s_waitcnt lgkmcnt(0)
	s_mul_i32 s2, s15, s5
	s_delay_alu instid0(SALU_CYCLE_1)
	s_lshl_b64 s[8:9], s[2:3], 1
	v_cmp_gt_i32_e64 s2, s5, v0
	s_add_u32 s14, s6, s8
	s_addc_u32 s15, s7, s9
	s_add_u32 s12, s0, 64
	s_addc_u32 s13, s1, 0
	s_mov_b32 s6, exec_lo
	v_cmpx_le_i32_e64 s5, v0
	s_xor_b32 s6, exec_lo, s6
	s_cbranch_execz .LBB1_2
; %bb.1:
	s_load_b32 s7, s[12:13], 0xc
	s_waitcnt lgkmcnt(0)
	s_and_b32 s17, s7, 0xffff
.LBB1_2:
	s_or_saveexec_b32 s16, s6
	s_clause 0x1
	s_load_b64 s[6:7], s[0:1], 0x10
	s_load_b64 s[10:11], s[0:1], 0x20
	v_mov_b32_e32 v4, s3
	v_mov_b32_e32 v2, s17
	s_xor_b32 exec_lo, exec_lo, s16
	s_cbranch_execz .LBB1_6
; %bb.3:
	s_load_b64 s[18:19], s[0:1], 0x0
	s_load_b32 s0, s[12:13], 0xc
	v_dual_mov_b32 v4, 0 :: v_dual_mov_b32 v1, v0
	s_mov_b32 s12, 0
	s_waitcnt lgkmcnt(0)
	s_add_u32 s1, s18, s8
	s_addc_u32 s3, s19, s9
	s_and_b32 s0, s0, 0xffff
	.p2align	6
.LBB1_4:                                ; =>This Inner Loop Header: Depth=1
	v_ashrrev_i32_e32 v2, 31, v1
	s_delay_alu instid0(VALU_DEP_1) | instskip(SKIP_1) | instid1(VALU_DEP_2)
	v_lshlrev_b64 v[2:3], 1, v[1:2]
	v_add_nc_u32_e32 v1, s0, v1
	v_add_co_u32 v5, vcc_lo, s1, v2
	s_delay_alu instid0(VALU_DEP_3)
	v_add_co_ci_u32_e32 v6, vcc_lo, s3, v3, vcc_lo
	v_add_co_u32 v2, vcc_lo, s14, v2
	v_add_co_ci_u32_e32 v3, vcc_lo, s15, v3, vcc_lo
	v_cmp_le_i32_e32 vcc_lo, s5, v1
	global_load_u16 v5, v[5:6], off
	global_load_u16 v6, v[2:3], off
	s_or_b32 s12, vcc_lo, s12
	s_waitcnt vmcnt(0)
	v_add_f16_e32 v5, v5, v6
	s_delay_alu instid0(VALU_DEP_1)
	v_fma_mix_f32 v4, v5, v5, v4 op_sel_hi:[1,1,0]
	global_store_b16 v[2:3], v5, off
	s_and_not1_b32 exec_lo, exec_lo, s12
	s_cbranch_execnz .LBB1_4
; %bb.5:
	s_or_b32 exec_lo, exec_lo, s12
	v_mov_b32_e32 v2, s0
.LBB1_6:
	s_or_b32 exec_lo, exec_lo, s16
	v_cvt_f32_i32_e32 v5, s5
	s_delay_alu instid0(VALU_DEP_1) | instskip(SKIP_1) | instid1(VALU_DEP_2)
	v_div_scale_f32 v3, null, v5, v5, v4
	v_div_scale_f32 v7, vcc_lo, v4, v5, v4
	v_rcp_f32_e32 v6, v3
	s_waitcnt_depctr 0xfff
	v_fma_f32 v1, -v3, v6, 1.0
	s_delay_alu instid0(VALU_DEP_1) | instskip(NEXT) | instid1(VALU_DEP_1)
	v_fmac_f32_e32 v6, v1, v6
	v_mul_f32_e32 v8, v7, v6
	s_delay_alu instid0(VALU_DEP_1) | instskip(NEXT) | instid1(VALU_DEP_1)
	v_fma_f32 v1, -v3, v8, v7
	v_fmac_f32_e32 v8, v1, v6
	v_mbcnt_lo_u32_b32 v1, -1, 0
	s_delay_alu instid0(VALU_DEP_2) | instskip(NEXT) | instid1(VALU_DEP_2)
	v_fma_f32 v3, -v3, v8, v7
	v_cmp_ne_u32_e64 s0, 31, v1
	s_delay_alu instid0(VALU_DEP_2) | instskip(NEXT) | instid1(VALU_DEP_2)
	v_div_fmas_f32 v6, v3, v6, v8
	v_add_co_ci_u32_e64 v7, s0, 0, v1, s0
	v_cmp_gt_u32_e32 vcc_lo, 30, v1
	s_mov_b32 s0, exec_lo
	s_delay_alu instid0(VALU_DEP_3) | instskip(NEXT) | instid1(VALU_DEP_3)
	v_div_fixup_f32 v6, v6, v5, v4
	v_lshlrev_b32_e32 v3, 2, v7
	v_and_b32_e32 v4, 0x3e0, v0
	v_cndmask_b32_e64 v7, 0, 1, vcc_lo
	ds_bpermute_b32 v5, v3, v6
	v_sub_nc_u32_e64 v13, v2, v4 clamp
	v_add_nc_u32_e32 v4, 1, v1
	v_lshlrev_b32_e32 v7, 1, v7
	s_delay_alu instid0(VALU_DEP_2) | instskip(SKIP_2) | instid1(VALU_DEP_3)
	v_cmp_lt_u32_e32 vcc_lo, v4, v13
	s_waitcnt lgkmcnt(0)
	v_add_f32_e32 v8, v6, v5
	v_add_lshl_u32 v5, v7, v1, 2
	s_delay_alu instid0(VALU_DEP_2) | instskip(SKIP_3) | instid1(VALU_DEP_1)
	v_cndmask_b32_e32 v8, v6, v8, vcc_lo
	v_cmp_gt_u32_e32 vcc_lo, 28, v1
	ds_bpermute_b32 v7, v5, v8
	v_cndmask_b32_e64 v6, 0, 1, vcc_lo
	v_lshlrev_b32_e32 v9, 2, v6
	v_add_nc_u32_e32 v6, 2, v1
	s_delay_alu instid0(VALU_DEP_1) | instskip(SKIP_3) | instid1(VALU_DEP_2)
	v_cmp_lt_u32_e32 vcc_lo, v6, v13
	s_waitcnt lgkmcnt(0)
	v_add_f32_e32 v10, v8, v7
	v_add_lshl_u32 v7, v9, v1, 2
	v_cndmask_b32_e32 v10, v8, v10, vcc_lo
	v_cmp_gt_u32_e32 vcc_lo, 24, v1
	ds_bpermute_b32 v9, v7, v10
	v_cndmask_b32_e64 v8, 0, 1, vcc_lo
	s_delay_alu instid0(VALU_DEP_1) | instskip(SKIP_1) | instid1(VALU_DEP_1)
	v_lshlrev_b32_e32 v11, 3, v8
	v_add_nc_u32_e32 v8, 4, v1
	v_cmp_lt_u32_e32 vcc_lo, v8, v13
	s_waitcnt lgkmcnt(0)
	v_add_f32_e32 v12, v10, v9
	v_add_lshl_u32 v9, v11, v1, 2
	s_delay_alu instid0(VALU_DEP_2) | instskip(SKIP_3) | instid1(VALU_DEP_1)
	v_cndmask_b32_e32 v12, v10, v12, vcc_lo
	v_cmp_gt_u32_e32 vcc_lo, 16, v1
	ds_bpermute_b32 v11, v9, v12
	v_cndmask_b32_e64 v10, 0, 1, vcc_lo
	v_lshlrev_b32_e32 v14, 4, v10
	v_add_nc_u32_e32 v10, 8, v1
	s_delay_alu instid0(VALU_DEP_1) | instskip(SKIP_3) | instid1(VALU_DEP_2)
	v_cmp_lt_u32_e32 vcc_lo, v10, v13
	s_waitcnt lgkmcnt(0)
	v_add_f32_e32 v15, v12, v11
	v_add_lshl_u32 v11, v14, v1, 2
	v_cndmask_b32_e32 v14, v12, v15, vcc_lo
	v_add_nc_u32_e32 v12, 16, v1
	ds_bpermute_b32 v15, v11, v14
	v_cmp_lt_u32_e32 vcc_lo, v12, v13
	s_waitcnt lgkmcnt(0)
	v_add_f32_e32 v15, v14, v15
	s_delay_alu instid0(VALU_DEP_1)
	v_cndmask_b32_e32 v13, v14, v15, vcc_lo
	v_cmpx_eq_u32_e32 0, v1
	s_cbranch_execz .LBB1_8
; %bb.7:
	v_lshrrev_b32_e32 v14, 3, v0
	s_delay_alu instid0(VALU_DEP_1)
	v_and_b32_e32 v14, 0x7c, v14
	ds_store_b32 v14, v13
.LBB1_8:
	s_or_b32 exec_lo, exec_lo, s0
	s_delay_alu instid0(SALU_CYCLE_1)
	s_mov_b32 s0, exec_lo
	s_waitcnt lgkmcnt(0)
	s_waitcnt_vscnt null, 0x0
	s_barrier
	buffer_gl0_inv
	v_cmpx_gt_u32_e32 32, v0
	s_cbranch_execz .LBB1_10
; %bb.9:
	v_lshlrev_b32_e32 v1, 2, v1
	v_add_nc_u32_e32 v13, 31, v2
	ds_load_b32 v1, v1
	v_lshrrev_b32_e32 v13, 5, v13
	s_delay_alu instid0(VALU_DEP_1) | instskip(SKIP_4) | instid1(VALU_DEP_1)
	v_cmp_lt_u32_e32 vcc_lo, v4, v13
	s_waitcnt lgkmcnt(0)
	ds_bpermute_b32 v3, v3, v1
	s_waitcnt lgkmcnt(0)
	v_add_f32_e32 v3, v1, v3
	v_cndmask_b32_e32 v1, v1, v3, vcc_lo
	v_cmp_lt_u32_e32 vcc_lo, v6, v13
	ds_bpermute_b32 v3, v5, v1
	s_waitcnt lgkmcnt(0)
	v_add_f32_e32 v3, v1, v3
	s_delay_alu instid0(VALU_DEP_1) | instskip(SKIP_4) | instid1(VALU_DEP_1)
	v_cndmask_b32_e32 v1, v1, v3, vcc_lo
	v_cmp_lt_u32_e32 vcc_lo, v8, v13
	ds_bpermute_b32 v3, v7, v1
	s_waitcnt lgkmcnt(0)
	v_add_f32_e32 v3, v1, v3
	v_cndmask_b32_e32 v1, v1, v3, vcc_lo
	v_cmp_lt_u32_e32 vcc_lo, v10, v13
	ds_bpermute_b32 v3, v9, v1
	s_waitcnt lgkmcnt(0)
	v_add_f32_e32 v3, v1, v3
	s_delay_alu instid0(VALU_DEP_1) | instskip(SKIP_4) | instid1(VALU_DEP_1)
	v_cndmask_b32_e32 v1, v1, v3, vcc_lo
	v_cmp_lt_u32_e32 vcc_lo, v12, v13
	ds_bpermute_b32 v3, v11, v1
	s_waitcnt lgkmcnt(0)
	v_add_f32_e32 v3, v1, v3
	v_cndmask_b32_e32 v13, v1, v3, vcc_lo
.LBB1_10:
	s_or_b32 exec_lo, exec_lo, s0
	s_delay_alu instid0(SALU_CYCLE_1)
	s_mov_b32 s0, exec_lo
	v_cmpx_eq_u32_e32 0, v0
	s_cbranch_execz .LBB1_12
; %bb.11:
	v_add_f32_e32 v1, s4, v13
	s_delay_alu instid0(VALU_DEP_1) | instskip(SKIP_1) | instid1(VALU_DEP_2)
	v_mul_f32_e32 v3, 0x4b800000, v1
	v_cmp_gt_f32_e32 vcc_lo, 0x800000, v1
	v_cndmask_b32_e32 v1, v1, v3, vcc_lo
	s_delay_alu instid0(VALU_DEP_1) | instskip(SKIP_2) | instid1(VALU_DEP_1)
	v_rsq_f32_e32 v1, v1
	s_waitcnt_depctr 0xfff
	v_mul_f32_e32 v3, 0x45800000, v1
	v_cndmask_b32_e32 v1, v1, v3, vcc_lo
	v_mov_b32_e32 v3, 0
	ds_store_b32 v3, v1 offset:128
.LBB1_12:
	s_or_b32 exec_lo, exec_lo, s0
	s_waitcnt lgkmcnt(0)
	s_barrier
	buffer_gl0_inv
	s_and_saveexec_b32 s0, s2
	s_cbranch_execz .LBB1_15
; %bb.13:
	v_mov_b32_e32 v1, 0
	s_add_u32 s1, s10, s8
	s_addc_u32 s2, s11, s9
	s_mov_b32 s3, 0
	ds_load_b32 v3, v1 offset:128
	.p2align	6
.LBB1_14:                               ; =>This Inner Loop Header: Depth=1
	v_ashrrev_i32_e32 v1, 31, v0
	s_delay_alu instid0(VALU_DEP_1) | instskip(SKIP_1) | instid1(VALU_DEP_2)
	v_lshlrev_b64 v[4:5], 1, v[0:1]
	v_add_nc_u32_e32 v0, v0, v2
	v_add_co_u32 v6, vcc_lo, s14, v4
	s_delay_alu instid0(VALU_DEP_3)
	v_add_co_ci_u32_e32 v7, vcc_lo, s15, v5, vcc_lo
	v_add_co_u32 v8, vcc_lo, s6, v4
	v_add_co_ci_u32_e32 v9, vcc_lo, s7, v5, vcc_lo
	v_cmp_le_i32_e32 vcc_lo, s5, v0
	global_load_u16 v1, v[6:7], off
	global_load_u16 v6, v[8:9], off
	v_add_co_u32 v4, s0, s1, v4
	s_delay_alu instid0(VALU_DEP_1) | instskip(SKIP_4) | instid1(VALU_DEP_1)
	v_add_co_ci_u32_e64 v5, s0, s2, v5, s0
	s_or_b32 s3, vcc_lo, s3
	s_waitcnt vmcnt(1) lgkmcnt(0)
	v_fma_mixlo_f16 v1, v3, v1, 0 op_sel_hi:[0,1,0]
	s_waitcnt vmcnt(0)
	v_mul_f16_e32 v1, v6, v1
	global_store_b16 v[4:5], v1, off
	s_and_not1_b32 exec_lo, exec_lo, s3
	s_cbranch_execnz .LBB1_14
.LBB1_15:
	s_nop 0
	s_sendmsg sendmsg(MSG_DEALLOC_VGPRS)
	s_endpgm
	.section	.rodata,"a",@progbits
	.p2align	6, 0x0
	.amdhsa_kernel _Z20_residual_rms_scalarI6__halfLb0EEvPKS0_PS0_S2_PKfPT_S3_fii
		.amdhsa_group_segment_fixed_size 132
		.amdhsa_private_segment_fixed_size 0
		.amdhsa_kernarg_size 320
		.amdhsa_user_sgpr_count 15
		.amdhsa_user_sgpr_dispatch_ptr 0
		.amdhsa_user_sgpr_queue_ptr 0
		.amdhsa_user_sgpr_kernarg_segment_ptr 1
		.amdhsa_user_sgpr_dispatch_id 0
		.amdhsa_user_sgpr_private_segment_size 0
		.amdhsa_wavefront_size32 1
		.amdhsa_uses_dynamic_stack 0
		.amdhsa_enable_private_segment 0
		.amdhsa_system_sgpr_workgroup_id_x 1
		.amdhsa_system_sgpr_workgroup_id_y 0
		.amdhsa_system_sgpr_workgroup_id_z 0
		.amdhsa_system_sgpr_workgroup_info 0
		.amdhsa_system_vgpr_workitem_id 0
		.amdhsa_next_free_vgpr 16
		.amdhsa_next_free_sgpr 20
		.amdhsa_reserve_vcc 1
		.amdhsa_float_round_mode_32 0
		.amdhsa_float_round_mode_16_64 0
		.amdhsa_float_denorm_mode_32 3
		.amdhsa_float_denorm_mode_16_64 3
		.amdhsa_dx10_clamp 1
		.amdhsa_ieee_mode 1
		.amdhsa_fp16_overflow 0
		.amdhsa_workgroup_processor_mode 1
		.amdhsa_memory_ordered 1
		.amdhsa_forward_progress 0
		.amdhsa_shared_vgpr_count 0
		.amdhsa_exception_fp_ieee_invalid_op 0
		.amdhsa_exception_fp_denorm_src 0
		.amdhsa_exception_fp_ieee_div_zero 0
		.amdhsa_exception_fp_ieee_overflow 0
		.amdhsa_exception_fp_ieee_underflow 0
		.amdhsa_exception_fp_ieee_inexact 0
		.amdhsa_exception_int_div_zero 0
	.end_amdhsa_kernel
	.section	.text._Z20_residual_rms_scalarI6__halfLb0EEvPKS0_PS0_S2_PKfPT_S3_fii,"axG",@progbits,_Z20_residual_rms_scalarI6__halfLb0EEvPKS0_PS0_S2_PKfPT_S3_fii,comdat
.Lfunc_end1:
	.size	_Z20_residual_rms_scalarI6__halfLb0EEvPKS0_PS0_S2_PKfPT_S3_fii, .Lfunc_end1-_Z20_residual_rms_scalarI6__halfLb0EEvPKS0_PS0_S2_PKfPT_S3_fii
                                        ; -- End function
	.section	.AMDGPU.csdata,"",@progbits
; Kernel info:
; codeLenInByte = 1232
; NumSgprs: 22
; NumVgprs: 16
; ScratchSize: 0
; MemoryBound: 0
; FloatMode: 240
; IeeeMode: 1
; LDSByteSize: 132 bytes/workgroup (compile time only)
; SGPRBlocks: 2
; VGPRBlocks: 1
; NumSGPRsForWavesPerEU: 22
; NumVGPRsForWavesPerEU: 16
; Occupancy: 16
; WaveLimiterHint : 0
; COMPUTE_PGM_RSRC2:SCRATCH_EN: 0
; COMPUTE_PGM_RSRC2:USER_SGPR: 15
; COMPUTE_PGM_RSRC2:TRAP_HANDLER: 0
; COMPUTE_PGM_RSRC2:TGID_X_EN: 1
; COMPUTE_PGM_RSRC2:TGID_Y_EN: 0
; COMPUTE_PGM_RSRC2:TGID_Z_EN: 0
; COMPUTE_PGM_RSRC2:TIDIG_COMP_CNT: 0
	.section	.text._Z24_residual_rms_vectorizedItLb1EEvPK6__halfPS0_S2_PKfPT_S3_fii,"axG",@progbits,_Z24_residual_rms_vectorizedItLb1EEvPK6__halfPS0_S2_PKfPT_S3_fii,comdat
	.protected	_Z24_residual_rms_vectorizedItLb1EEvPK6__halfPS0_S2_PKfPT_S3_fii ; -- Begin function _Z24_residual_rms_vectorizedItLb1EEvPK6__halfPS0_S2_PKfPT_S3_fii
	.globl	_Z24_residual_rms_vectorizedItLb1EEvPK6__halfPS0_S2_PKfPT_S3_fii
	.p2align	8
	.type	_Z24_residual_rms_vectorizedItLb1EEvPK6__halfPS0_S2_PKfPT_S3_fii,@function
_Z24_residual_rms_vectorizedItLb1EEvPK6__halfPS0_S2_PKfPT_S3_fii: ; @_Z24_residual_rms_vectorizedItLb1EEvPK6__halfPS0_S2_PKfPT_S3_fii
; %bb.0:
	s_clause 0x3
	s_load_b32 s2, s[0:1], 0x4c
	s_load_b128 s[16:19], s[0:1], 0x30
	s_load_b64 s[12:13], s[0:1], 0x28
	s_load_b256 s[4:11], s[0:1], 0x8
	s_mov_b32 s22, 0
	v_lshlrev_b32_e32 v8, 3, v0
	v_lshlrev_b32_e32 v18, 4, v0
	s_delay_alu instid0(VALU_DEP_2) | instskip(SKIP_2) | instid1(SALU_CYCLE_1)
	v_not_b32_e32 v3, v8
	s_waitcnt lgkmcnt(0)
	s_and_b32 s3, s2, 0xffff
	s_lshl_b32 s14, s3, 3
	s_delay_alu instid0(SALU_CYCLE_1) | instskip(SKIP_2) | instid1(VALU_DEP_2)
	v_cvt_f32_u32_e32 v1, s14
	s_sub_i32 s2, 0, s14
	v_add3_u32 v3, s14, s17, v3
	v_rcp_iflag_f32_e32 v1, v1
	s_waitcnt_depctr 0xfff
	v_mul_f32_e32 v1, 0x4f7ffffe, v1
	s_delay_alu instid0(VALU_DEP_1) | instskip(NEXT) | instid1(VALU_DEP_1)
	v_cvt_u32_f32_e32 v1, v1
	v_mul_lo_u32 v2, s2, v1
	s_delay_alu instid0(VALU_DEP_1) | instskip(NEXT) | instid1(VALU_DEP_1)
	v_mul_hi_u32 v2, v1, v2
	v_add_nc_u32_e32 v1, v1, v2
	s_delay_alu instid0(VALU_DEP_1) | instskip(NEXT) | instid1(VALU_DEP_1)
	v_mul_hi_u32 v1, v3, v1
	v_mul_lo_u32 v2, v1, s14
	s_delay_alu instid0(VALU_DEP_1) | instskip(SKIP_1) | instid1(VALU_DEP_2)
	v_sub_nc_u32_e32 v2, v3, v2
	v_add_nc_u32_e32 v3, 1, v1
	v_subrev_nc_u32_e32 v4, s14, v2
	v_cmp_le_u32_e32 vcc_lo, s14, v2
	s_delay_alu instid0(VALU_DEP_2) | instskip(SKIP_1) | instid1(VALU_DEP_2)
	v_dual_cndmask_b32 v3, v1, v3 :: v_dual_cndmask_b32 v4, v2, v4
	v_mad_u64_u32 v[1:2], null, s15, s17, v[8:9]
	v_dual_mov_b32 v2, 0 :: v_dual_add_nc_u32 v5, 1, v3
	s_delay_alu instid0(VALU_DEP_3) | instskip(NEXT) | instid1(VALU_DEP_2)
	v_cmp_le_u32_e32 vcc_lo, s14, v4
	v_cndmask_b32_e32 v17, v3, v5, vcc_lo
	s_delay_alu instid0(VALU_DEP_3) | instskip(NEXT) | instid1(VALU_DEP_2)
	v_lshlrev_b64 v[3:4], 1, v[1:2]
	v_cmp_lt_i32_e64 s2, 0, v17
	s_delay_alu instid0(VALU_DEP_1)
	s_and_saveexec_b32 s19, s2
	s_cbranch_execz .LBB2_4
; %bb.1:
	s_load_b64 s[0:1], s[0:1], 0x0
	v_dual_mov_b32 v2, 0 :: v_dual_mov_b32 v5, v18
	s_mov_b64 s[20:21], s[4:5]
	s_lshl_b32 s23, s3, 4
	s_mov_b32 s24, 0
	s_set_inst_prefetch_distance 0x1
	.p2align	6
.LBB2_2:                                ; =>This Inner Loop Header: Depth=1
	s_waitcnt lgkmcnt(0)
	v_add_co_u32 v6, vcc_lo, s0, v3
	v_add_co_ci_u32_e32 v7, vcc_lo, s1, v4, vcc_lo
	v_add_co_u32 v13, vcc_lo, s20, v3
	v_add_co_ci_u32_e32 v14, vcc_lo, s21, v4, vcc_lo
	s_add_i32 s24, s24, 1
	global_load_b128 v[9:12], v[6:7], off
	global_load_b128 v[13:16], v[13:14], off
	v_cmp_ge_i32_e32 vcc_lo, s24, v17
	s_add_u32 s0, s0, s23
	s_addc_u32 s1, s1, 0
	s_add_u32 s20, s20, s23
	s_addc_u32 s21, s21, 0
	s_or_b32 s22, vcc_lo, s22
	s_waitcnt vmcnt(0)
	v_pk_add_f16 v9, v9, v13
	v_pk_add_f16 v10, v10, v14
	;; [unrolled: 1-line block ×4, first 2 shown]
	s_delay_alu instid0(VALU_DEP_4) | instskip(SKIP_3) | instid1(VALU_DEP_1)
	v_fma_mix_f32 v2, v9, v9, v2 op_sel_hi:[1,1,0]
	ds_store_b128 v5, v[9:12]
	v_add_nc_u32_e32 v5, s23, v5
	v_fma_mix_f32 v2, v9, v9, v2 op_sel:[1,1,0] op_sel_hi:[1,1,0]
	v_fma_mix_f32 v2, v10, v10, v2 op_sel_hi:[1,1,0]
	s_delay_alu instid0(VALU_DEP_1) | instskip(NEXT) | instid1(VALU_DEP_1)
	v_fma_mix_f32 v2, v10, v10, v2 op_sel:[1,1,0] op_sel_hi:[1,1,0]
	v_fma_mix_f32 v2, v11, v11, v2 op_sel_hi:[1,1,0]
	s_delay_alu instid0(VALU_DEP_1) | instskip(NEXT) | instid1(VALU_DEP_1)
	v_fma_mix_f32 v2, v11, v11, v2 op_sel:[1,1,0] op_sel_hi:[1,1,0]
	v_fma_mix_f32 v2, v12, v12, v2 op_sel_hi:[1,1,0]
	s_delay_alu instid0(VALU_DEP_1)
	v_fma_mix_f32 v2, v12, v12, v2 op_sel:[1,1,0] op_sel_hi:[1,1,0]
	s_and_not1_b32 exec_lo, exec_lo, s22
	s_cbranch_execnz .LBB2_2
; %bb.3:
	s_set_inst_prefetch_distance 0x2
	s_or_b32 exec_lo, exec_lo, s22
.LBB2_4:
	s_delay_alu instid0(SALU_CYCLE_1) | instskip(SKIP_1) | instid1(VALU_DEP_1)
	s_or_b32 exec_lo, exec_lo, s19
	v_cvt_f32_i32_e32 v7, s17
	v_div_scale_f32 v6, null, v7, v7, v2
	v_div_scale_f32 v10, vcc_lo, v2, v7, v2
	s_delay_alu instid0(VALU_DEP_2) | instskip(SKIP_2) | instid1(VALU_DEP_1)
	v_rcp_f32_e32 v9, v6
	s_waitcnt_depctr 0xfff
	v_fma_f32 v5, -v6, v9, 1.0
	v_fmac_f32_e32 v9, v5, v9
	s_delay_alu instid0(VALU_DEP_1) | instskip(NEXT) | instid1(VALU_DEP_1)
	v_mul_f32_e32 v11, v10, v9
	v_fma_f32 v5, -v6, v11, v10
	s_delay_alu instid0(VALU_DEP_1) | instskip(SKIP_1) | instid1(VALU_DEP_2)
	v_fmac_f32_e32 v11, v5, v9
	v_mbcnt_lo_u32_b32 v5, -1, 0
	v_fma_f32 v6, -v6, v11, v10
	s_delay_alu instid0(VALU_DEP_2) | instskip(NEXT) | instid1(VALU_DEP_2)
	v_cmp_ne_u32_e64 s0, 31, v5
	v_div_fmas_f32 v9, v6, v9, v11
	s_delay_alu instid0(VALU_DEP_2) | instskip(SKIP_2) | instid1(VALU_DEP_3)
	v_add_co_ci_u32_e64 v10, s0, 0, v5, s0
	v_cmp_gt_u32_e32 vcc_lo, 30, v5
	s_mov_b32 s0, exec_lo
	v_div_fixup_f32 v9, v9, v7, v2
	s_delay_alu instid0(VALU_DEP_3)
	v_lshlrev_b32_e32 v6, 2, v10
	v_and_b32_e32 v2, 0x3e0, v0
	v_cndmask_b32_e64 v10, 0, 1, vcc_lo
	ds_bpermute_b32 v7, v6, v9
	v_sub_nc_u32_e64 v16, s3, v2 clamp
	v_lshlrev_b32_e32 v10, 1, v10
	s_waitcnt lgkmcnt(0)
	v_dual_add_f32 v11, v9, v7 :: v_dual_add_nc_u32 v2, 1, v5
	s_delay_alu instid0(VALU_DEP_1) | instskip(NEXT) | instid1(VALU_DEP_3)
	v_cmp_lt_u32_e32 vcc_lo, v2, v16
	v_add_lshl_u32 v7, v10, v5, 2
	s_delay_alu instid0(VALU_DEP_3) | instskip(SKIP_2) | instid1(VALU_DEP_1)
	v_cndmask_b32_e32 v11, v9, v11, vcc_lo
	v_cmp_gt_u32_e32 vcc_lo, 28, v5
	v_cndmask_b32_e64 v9, 0, 1, vcc_lo
	v_lshlrev_b32_e32 v12, 2, v9
	ds_bpermute_b32 v10, v7, v11
	v_add_nc_u32_e32 v9, 2, v5
	s_delay_alu instid0(VALU_DEP_1) | instskip(SKIP_3) | instid1(VALU_DEP_2)
	v_cmp_lt_u32_e32 vcc_lo, v9, v16
	s_waitcnt lgkmcnt(0)
	v_add_f32_e32 v13, v11, v10
	v_add_lshl_u32 v10, v12, v5, 2
	v_cndmask_b32_e32 v13, v11, v13, vcc_lo
	v_cmp_gt_u32_e32 vcc_lo, 24, v5
	ds_bpermute_b32 v12, v10, v13
	v_cndmask_b32_e64 v11, 0, 1, vcc_lo
	s_delay_alu instid0(VALU_DEP_1) | instskip(SKIP_1) | instid1(VALU_DEP_1)
	v_lshlrev_b32_e32 v14, 3, v11
	v_add_nc_u32_e32 v11, 4, v5
	v_cmp_lt_u32_e32 vcc_lo, v11, v16
	s_waitcnt lgkmcnt(0)
	v_add_f32_e32 v15, v13, v12
	v_add_lshl_u32 v12, v14, v5, 2
	s_delay_alu instid0(VALU_DEP_2) | instskip(SKIP_3) | instid1(VALU_DEP_1)
	v_cndmask_b32_e32 v15, v13, v15, vcc_lo
	v_cmp_gt_u32_e32 vcc_lo, 16, v5
	ds_bpermute_b32 v14, v12, v15
	v_cndmask_b32_e64 v13, 0, 1, vcc_lo
	v_lshlrev_b32_e32 v19, 4, v13
	v_add_nc_u32_e32 v13, 8, v5
	s_delay_alu instid0(VALU_DEP_1) | instskip(SKIP_3) | instid1(VALU_DEP_2)
	v_cmp_lt_u32_e32 vcc_lo, v13, v16
	s_waitcnt lgkmcnt(0)
	v_add_f32_e32 v20, v15, v14
	v_add_lshl_u32 v14, v19, v5, 2
	v_cndmask_b32_e32 v19, v15, v20, vcc_lo
	v_add_nc_u32_e32 v15, 16, v5
	ds_bpermute_b32 v20, v14, v19
	v_cmp_lt_u32_e32 vcc_lo, v15, v16
	s_waitcnt lgkmcnt(0)
	v_add_f32_e32 v20, v19, v20
	s_delay_alu instid0(VALU_DEP_1)
	v_cndmask_b32_e32 v16, v19, v20, vcc_lo
	v_cmpx_eq_u32_e32 0, v5
	s_cbranch_execz .LBB2_6
; %bb.5:
	v_lshrrev_b32_e32 v19, 3, v0
	s_delay_alu instid0(VALU_DEP_1)
	v_and_b32_e32 v19, 0x7c, v19
	ds_store_b32 v19, v16 offset:32768
.LBB2_6:
	s_or_b32 exec_lo, exec_lo, s0
	s_delay_alu instid0(SALU_CYCLE_1)
	s_mov_b32 s0, exec_lo
	s_waitcnt lgkmcnt(0)
	s_barrier
	buffer_gl0_inv
	v_cmpx_gt_u32_e32 32, v0
	s_cbranch_execz .LBB2_8
; %bb.7:
	v_lshlrev_b32_e32 v5, 2, v5
	s_add_i32 s1, s3, 31
	s_delay_alu instid0(SALU_CYCLE_1) | instskip(NEXT) | instid1(SALU_CYCLE_1)
	s_lshr_b32 s1, s1, 5
	v_cmp_gt_u32_e32 vcc_lo, s1, v2
	ds_load_b32 v5, v5 offset:32768
	s_waitcnt lgkmcnt(0)
	ds_bpermute_b32 v6, v6, v5
	s_waitcnt lgkmcnt(0)
	v_add_f32_e32 v6, v5, v6
	s_delay_alu instid0(VALU_DEP_1) | instskip(SKIP_4) | instid1(VALU_DEP_1)
	v_cndmask_b32_e32 v2, v5, v6, vcc_lo
	v_cmp_gt_u32_e32 vcc_lo, s1, v9
	ds_bpermute_b32 v5, v7, v2
	s_waitcnt lgkmcnt(0)
	v_add_f32_e32 v5, v2, v5
	v_cndmask_b32_e32 v2, v2, v5, vcc_lo
	v_cmp_gt_u32_e32 vcc_lo, s1, v11
	ds_bpermute_b32 v5, v10, v2
	s_waitcnt lgkmcnt(0)
	v_add_f32_e32 v5, v2, v5
	s_delay_alu instid0(VALU_DEP_1) | instskip(SKIP_4) | instid1(VALU_DEP_1)
	v_cndmask_b32_e32 v2, v2, v5, vcc_lo
	v_cmp_gt_u32_e32 vcc_lo, s1, v13
	ds_bpermute_b32 v5, v12, v2
	s_waitcnt lgkmcnt(0)
	v_add_f32_e32 v5, v2, v5
	v_cndmask_b32_e32 v2, v2, v5, vcc_lo
	v_cmp_gt_u32_e32 vcc_lo, s1, v15
	ds_bpermute_b32 v5, v14, v2
	s_waitcnt lgkmcnt(0)
	v_add_f32_e32 v5, v2, v5
	s_delay_alu instid0(VALU_DEP_1)
	v_cndmask_b32_e32 v16, v2, v5, vcc_lo
.LBB2_8:
	s_or_b32 exec_lo, exec_lo, s0
	s_delay_alu instid0(SALU_CYCLE_1)
	s_mov_b32 s0, exec_lo
	v_cmpx_eq_u32_e32 0, v0
	s_cbranch_execz .LBB2_10
; %bb.9:
	v_add_f32_e32 v0, s16, v16
	s_delay_alu instid0(VALU_DEP_1) | instskip(SKIP_1) | instid1(VALU_DEP_2)
	v_mul_f32_e32 v2, 0x4b800000, v0
	v_cmp_gt_f32_e32 vcc_lo, 0x800000, v0
	v_cndmask_b32_e32 v0, v0, v2, vcc_lo
	s_delay_alu instid0(VALU_DEP_1) | instskip(SKIP_2) | instid1(VALU_DEP_1)
	v_rsq_f32_e32 v0, v0
	s_waitcnt_depctr 0xfff
	v_mul_f32_e32 v2, 0x45800000, v0
	v_cndmask_b32_e32 v0, v0, v2, vcc_lo
	v_mov_b32_e32 v2, 0
	ds_store_b32 v2, v0 offset:32896
.LBB2_10:
	s_or_b32 exec_lo, exec_lo, s0
	v_mov_b32_e32 v10, 0
	s_waitcnt lgkmcnt(0)
	s_barrier
	buffer_gl0_inv
	s_load_b32 s0, s[8:9], 0x0
	ds_load_b32 v0, v10 offset:32896
	s_waitcnt lgkmcnt(0)
	v_div_scale_f32 v2, null, s0, s0, v0
	s_delay_alu instid0(VALU_DEP_1) | instskip(SKIP_2) | instid1(VALU_DEP_1)
	v_rcp_f32_e32 v5, v2
	s_waitcnt_depctr 0xfff
	v_fma_f32 v6, -v2, v5, 1.0
	v_fmac_f32_e32 v5, v6, v5
	v_div_scale_f32 v6, vcc_lo, v0, s0, v0
	s_delay_alu instid0(VALU_DEP_1) | instskip(NEXT) | instid1(VALU_DEP_1)
	v_mul_f32_e32 v7, v6, v5
	v_fma_f32 v9, -v2, v7, v6
	s_delay_alu instid0(VALU_DEP_1) | instskip(NEXT) | instid1(VALU_DEP_1)
	v_fmac_f32_e32 v7, v9, v5
	v_fma_f32 v2, -v2, v7, v6
	s_delay_alu instid0(VALU_DEP_1) | instskip(NEXT) | instid1(VALU_DEP_1)
	v_div_fmas_f32 v2, v2, v5, v7
	v_div_fixup_f32 v19, v2, s0, v0
	ds_store_b32 v10, v19 offset:32896
	s_and_saveexec_b32 s1, s2
	s_cbranch_execz .LBB2_109
; %bb.11:
	v_and_b32_e32 v0, -2, v1
	v_lshlrev_b32_e32 v1, 1, v8
	v_add_co_u32 v20, vcc_lo, s4, v3
	v_add_co_ci_u32_e32 v21, vcc_lo, s5, v4, vcc_lo
	s_delay_alu instid0(VALU_DEP_4) | instskip(NEXT) | instid1(VALU_DEP_1)
	v_add_co_u32 v0, s0, v0, s10
	v_add_co_ci_u32_e64 v2, null, 0, s11, s0
	v_add_co_u32 v22, s0, s6, v1
	s_delay_alu instid0(VALU_DEP_3) | instskip(SKIP_1) | instid1(VALU_DEP_4)
	v_add_co_u32 v11, vcc_lo, v0, 4
	v_add_co_ci_u32_e64 v23, null, s7, 0, s0
	v_add_co_ci_u32_e32 v12, vcc_lo, 0, v2, vcc_lo
	s_mov_b32 s4, 0
	s_lshl_b32 s5, s3, 4
	s_mov_b64 s[2:3], 0
	s_mov_b32 s6, 0
	s_branch .LBB2_16
.LBB2_12:                               ;   in Loop: Header=BB2_16 Depth=1
	s_or_b32 exec_lo, exec_lo, s0
	s_delay_alu instid0(VALU_DEP_1) | instskip(NEXT) | instid1(VALU_DEP_2)
	v_lshrrev_b64 v[0:1], 20, v[0:1]
	v_cmp_gt_i32_e32 vcc_lo, 16, v2
	v_and_b32_e32 v3, 0x80, v5
	v_min_i32_e32 v5, 15, v2
	v_cmp_eq_u32_e64 s0, 0, v2
	v_dual_cndmask_b32 v0, 7, v0 :: v_dual_cndmask_b32 v1, 0, v1
	s_delay_alu instid0(VALU_DEP_3) | instskip(NEXT) | instid1(VALU_DEP_2)
	v_lshl_or_b32 v3, v5, 3, v3
	v_cmp_eq_u64_e32 vcc_lo, 0, v[0:1]
	s_delay_alu instid0(VALU_DEP_2)
	v_and_or_b32 v0, v0, 7, v3
	s_and_b32 s0, s0, vcc_lo
	s_delay_alu instid0(VALU_DEP_1) | instid1(SALU_CYCLE_1)
	v_cndmask_b32_e64 v0, v0, 0, s0
.LBB2_13:                               ;   in Loop: Header=BB2_16 Depth=1
	s_or_b32 exec_lo, exec_lo, s9
.LBB2_14:                               ;   in Loop: Header=BB2_16 Depth=1
	s_and_not1_saveexec_b32 s0, s8
	s_delay_alu instid0(SALU_CYCLE_1)
	s_or_b32 exec_lo, exec_lo, s0
.LBB2_15:                               ;   in Loop: Header=BB2_16 Depth=1
	s_and_not1_saveexec_b32 s0, s7
	s_delay_alu instid0(SALU_CYCLE_1)
	s_or_b32 exec_lo, exec_lo, s0
	v_lshlrev_b16 v1, 8, v15
	v_and_b32_e32 v2, 0xff, v6
	v_lshlrev_b16 v3, 8, v13
	v_and_b32_e32 v5, 0xff, v14
	v_lshlrev_b16 v6, 8, v24
	v_lshlrev_b16 v4, 8, v4
	v_and_b32_e32 v0, 0xff, v0
	v_and_b32_e32 v7, 0xff, v25
	v_or_b32_e32 v1, v1, v2
	v_or_b32_e32 v2, v3, v5
	s_add_i32 s6, s6, 1
	v_or_b32_e32 v0, v4, v0
	v_or_b32_e32 v3, v6, v7
	v_cmp_ge_i32_e32 vcc_lo, s6, v17
	v_add_nc_u32_e32 v18, s5, v18
	s_add_u32 s2, s2, s5
	v_perm_b32 v1, v0, v1, 0x5040100
	v_perm_b32 v0, v2, v3, 0x5040100
	s_addc_u32 s3, s3, 0
	s_or_b32 s4, vcc_lo, s4
	global_store_b64 v[11:12], v[0:1], off offset:-4
	v_add_co_u32 v11, s0, v11, s14
	s_delay_alu instid0(VALU_DEP_1)
	v_add_co_ci_u32_e64 v12, s0, 0, v12, s0
	s_and_not1_b32 exec_lo, exec_lo, s4
	s_cbranch_execz .LBB2_109
.LBB2_16:                               ; =>This Inner Loop Header: Depth=1
	v_add_co_u32 v0, vcc_lo, v22, s2
	v_add_co_ci_u32_e32 v1, vcc_lo, s3, v23, vcc_lo
	ds_load_b128 v[4:7], v18
	v_add_co_u32 v14, vcc_lo, v20, s2
	global_load_b128 v[0:3], v[0:1], off
	v_add_co_ci_u32_e32 v15, vcc_lo, s3, v21, vcc_lo
	s_mov_b32 s0, exec_lo
	s_waitcnt lgkmcnt(0)
	v_lshrrev_b32_e32 v9, 16, v4
	global_store_b128 v[14:15], v[4:7], off
	v_cvt_f32_f16_e32 v9, v9
	s_waitcnt vmcnt(0)
	v_lshrrev_b32_e32 v13, 16, v0
	s_delay_alu instid0(VALU_DEP_1) | instskip(NEXT) | instid1(VALU_DEP_1)
	v_cvt_f32_f16_e32 v13, v13
	v_mul_f32_e32 v9, v13, v9
	s_delay_alu instid0(VALU_DEP_1) | instskip(NEXT) | instid1(VALU_DEP_1)
	v_mul_f32_e32 v13, v19, v9
	v_lshrrev_b32_e32 v25, 24, v13
	v_and_b32_e32 v9, 0x7f800000, v13
	s_delay_alu instid0(VALU_DEP_2) | instskip(NEXT) | instid1(VALU_DEP_2)
	v_or_b32_e32 v24, 0x7f, v25
	v_cmpx_ne_u64_e32 0x7f800000, v[9:10]
	s_xor_b32 s7, exec_lo, s0
	s_cbranch_execz .LBB2_28
; %bb.17:                               ;   in Loop: Header=BB2_16 Depth=1
	v_and_b32_e32 v9, 0x7fffffff, v13
	s_mov_b32 s0, exec_lo
	s_delay_alu instid0(VALU_DEP_1)
	v_cmpx_gt_u64_e32 0x43700001, v[9:10]
	s_xor_b32 s8, exec_lo, s0
	s_cbranch_execz .LBB2_27
; %bb.18:                               ;   in Loop: Header=BB2_16 Depth=1
	v_mov_b32_e32 v24, 0
	s_mov_b32 s9, exec_lo
	v_cmpx_ne_u32_e32 0, v13
	s_cbranch_execz .LBB2_26
; %bb.19:                               ;   in Loop: Header=BB2_16 Depth=1
	v_bfe_u32 v24, v13, 23, 8
	v_mov_b32_e32 v16, v10
	s_delay_alu instid0(VALU_DEP_2) | instskip(SKIP_1) | instid1(VALU_DEP_2)
	v_sub_nc_u32_e32 v9, 0x78, v24
	v_cmp_gt_u32_e32 vcc_lo, 0x79, v24
	v_cndmask_b32_e32 v9, 0, v9, vcc_lo
	v_cmp_eq_u32_e32 vcc_lo, 0, v24
	s_delay_alu instid0(VALU_DEP_2) | instskip(SKIP_1) | instid1(VALU_DEP_2)
	v_cndmask_b32_e64 v26, v9, 0x77, vcc_lo
	v_and_b32_e32 v9, 0x7fffff, v13
	v_add_nc_u32_e32 v13, 20, v26
	s_delay_alu instid0(VALU_DEP_2) | instskip(NEXT) | instid1(VALU_DEP_2)
	v_or_b32_e32 v15, 0x800000, v9
	v_lshlrev_b64 v[13:14], v13, -1
	s_delay_alu instid0(VALU_DEP_2) | instskip(NEXT) | instid1(VALU_DEP_2)
	v_dual_cndmask_b32 v9, v15, v9 :: v_dual_add_nc_u32 v14, 19, v26
	v_not_b32_e32 v13, v13
	s_delay_alu instid0(VALU_DEP_2) | instskip(NEXT) | instid1(VALU_DEP_2)
	v_lshlrev_b64 v[27:28], v14, 1
	v_and_b32_e32 v15, v9, v13
	v_lshrrev_b64 v[13:14], v26, v[9:10]
	s_delay_alu instid0(VALU_DEP_2) | instskip(NEXT) | instid1(VALU_DEP_2)
	v_cmp_eq_u64_e64 s0, v[15:16], v[27:28]
	v_dual_mov_b32 v16, v14 :: v_dual_mov_b32 v15, v13
	s_delay_alu instid0(VALU_DEP_2)
	s_and_saveexec_b32 s10, s0
; %bb.20:                               ;   in Loop: Header=BB2_16 Depth=1
	v_bfe_u32 v9, v13, 20, 1
	s_delay_alu instid0(VALU_DEP_1) | instskip(NEXT) | instid1(VALU_DEP_1)
	v_add_co_u32 v9, s0, v13, v9
	v_add_co_u32 v15, s0, v9, -1
; %bb.21:                               ;   in Loop: Header=BB2_16 Depth=1
	s_or_b32 exec_lo, exec_lo, s10
	v_add_nc_u32_e32 v9, 0xffffff81, v24
	v_lshrrev_b32_e32 v16, 23, v13
	s_mov_b32 s0, exec_lo
	s_delay_alu instid0(VALU_DEP_2) | instskip(NEXT) | instid1(VALU_DEP_1)
	v_cndmask_b32_e64 v9, v9, 0xffffff82, vcc_lo
	v_add3_u32 v16, v26, v9, v16
	v_and_b32_e32 v9, 0xfffff, v15
	s_delay_alu instid0(VALU_DEP_2) | instskip(NEXT) | instid1(VALU_DEP_2)
	v_add_nc_u32_e32 v15, 7, v16
	v_add_co_u32 v13, vcc_lo, v9, v13
	v_add_co_ci_u32_e32 v14, vcc_lo, 0, v14, vcc_lo
                                        ; implicit-def: $vgpr9
	s_delay_alu instid0(VALU_DEP_3)
	v_cmpx_ne_u32_e32 0, v15
	s_xor_b32 s0, exec_lo, s0
; %bb.22:                               ;   in Loop: Header=BB2_16 Depth=1
	s_delay_alu instid0(VALU_DEP_2) | instskip(SKIP_1) | instid1(VALU_DEP_1)
	v_cmp_lt_u64_e32 vcc_lo, 0xffffff, v[13:14]
	v_add_nc_u32_e32 v9, 8, v16
	v_cndmask_b32_e32 v9, v15, v9, vcc_lo
	v_cndmask_b32_e64 v15, 0, 1, vcc_lo
	s_delay_alu instid0(VALU_DEP_1)
	v_lshrrev_b64 v[13:14], v15, v[13:14]
; %bb.23:                               ;   in Loop: Header=BB2_16 Depth=1
	s_and_not1_saveexec_b32 s0, s0
; %bb.24:                               ;   in Loop: Header=BB2_16 Depth=1
	s_delay_alu instid0(VALU_DEP_1)
	v_bfe_u32 v9, v13, 23, 1
; %bb.25:                               ;   in Loop: Header=BB2_16 Depth=1
	s_or_b32 exec_lo, exec_lo, s0
	s_delay_alu instid0(VALU_DEP_2) | instskip(NEXT) | instid1(VALU_DEP_2)
	v_lshrrev_b64 v[13:14], 20, v[13:14]
	v_cmp_gt_i32_e32 vcc_lo, 16, v9
	v_and_b32_e32 v15, 0x80, v25
	v_min_i32_e32 v16, 15, v9
	v_cmp_eq_u32_e64 s0, 0, v9
	v_dual_cndmask_b32 v14, 0, v14 :: v_dual_cndmask_b32 v13, 7, v13
	s_delay_alu instid0(VALU_DEP_3) | instskip(NEXT) | instid1(VALU_DEP_2)
	v_lshl_or_b32 v15, v16, 3, v15
	v_cmp_eq_u64_e32 vcc_lo, 0, v[13:14]
	s_delay_alu instid0(VALU_DEP_2)
	v_and_or_b32 v9, v13, 7, v15
	s_and_b32 s0, s0, vcc_lo
	s_delay_alu instid0(VALU_DEP_1) | instid1(SALU_CYCLE_1)
	v_cndmask_b32_e64 v24, v9, 0, s0
.LBB2_26:                               ;   in Loop: Header=BB2_16 Depth=1
	s_or_b32 exec_lo, exec_lo, s9
.LBB2_27:                               ;   in Loop: Header=BB2_16 Depth=1
	s_and_not1_saveexec_b32 s0, s8
	s_delay_alu instid0(SALU_CYCLE_1)
	s_or_b32 exec_lo, exec_lo, s0
.LBB2_28:                               ;   in Loop: Header=BB2_16 Depth=1
	s_and_not1_saveexec_b32 s0, s7
	s_delay_alu instid0(SALU_CYCLE_1) | instskip(SKIP_3) | instid1(VALU_DEP_1)
	s_or_b32 exec_lo, exec_lo, s0
	v_cvt_f32_f16_e32 v4, v4
	v_cvt_f32_f16_e32 v0, v0
	s_mov_b32 s0, exec_lo
	v_mul_f32_e32 v0, v0, v4
	s_delay_alu instid0(VALU_DEP_1) | instskip(NEXT) | instid1(VALU_DEP_1)
	v_mul_f32_e32 v4, v19, v0
	v_lshrrev_b32_e32 v0, 24, v4
	v_and_b32_e32 v9, 0x7f800000, v4
	s_delay_alu instid0(VALU_DEP_2) | instskip(NEXT) | instid1(VALU_DEP_2)
	v_or_b32_e32 v25, 0x7f, v0
	v_cmpx_ne_u64_e32 0x7f800000, v[9:10]
	s_xor_b32 s7, exec_lo, s0
	s_cbranch_execz .LBB2_40
; %bb.29:                               ;   in Loop: Header=BB2_16 Depth=1
	v_and_b32_e32 v9, 0x7fffffff, v4
	s_mov_b32 s0, exec_lo
	s_delay_alu instid0(VALU_DEP_1)
	v_cmpx_gt_u64_e32 0x43700001, v[9:10]
	s_xor_b32 s8, exec_lo, s0
	s_cbranch_execz .LBB2_39
; %bb.30:                               ;   in Loop: Header=BB2_16 Depth=1
	v_mov_b32_e32 v25, 0
	s_mov_b32 s9, exec_lo
	v_cmpx_ne_u32_e32 0, v4
	s_cbranch_execz .LBB2_38
; %bb.31:                               ;   in Loop: Header=BB2_16 Depth=1
	v_bfe_u32 v25, v4, 23, 8
	v_and_b32_e32 v4, 0x7fffff, v4
	v_mov_b32_e32 v16, v10
	s_delay_alu instid0(VALU_DEP_3) | instskip(SKIP_1) | instid1(VALU_DEP_4)
	v_sub_nc_u32_e32 v9, 0x78, v25
	v_cmp_gt_u32_e32 vcc_lo, 0x79, v25
	v_or_b32_e32 v15, 0x800000, v4
	s_delay_alu instid0(VALU_DEP_3) | instskip(SKIP_1) | instid1(VALU_DEP_2)
	v_cndmask_b32_e32 v9, 0, v9, vcc_lo
	v_cmp_eq_u32_e32 vcc_lo, 0, v25
	v_cndmask_b32_e64 v26, v9, 0x77, vcc_lo
	s_delay_alu instid0(VALU_DEP_1) | instskip(NEXT) | instid1(VALU_DEP_1)
	v_add_nc_u32_e32 v9, 20, v26
	v_lshlrev_b64 v[13:14], v9, -1
	v_dual_cndmask_b32 v9, v15, v4 :: v_dual_add_nc_u32 v4, 19, v26
	s_delay_alu instid0(VALU_DEP_2) | instskip(NEXT) | instid1(VALU_DEP_2)
	v_not_b32_e32 v13, v13
	v_lshlrev_b64 v[27:28], v4, 1
	s_delay_alu instid0(VALU_DEP_2) | instskip(SKIP_1) | instid1(VALU_DEP_2)
	v_and_b32_e32 v15, v9, v13
	v_lshrrev_b64 v[13:14], v26, v[9:10]
	v_cmp_eq_u64_e64 s0, v[15:16], v[27:28]
	s_delay_alu instid0(VALU_DEP_2) | instskip(NEXT) | instid1(VALU_DEP_2)
	v_dual_mov_b32 v16, v14 :: v_dual_mov_b32 v15, v13
	s_and_saveexec_b32 s10, s0
; %bb.32:                               ;   in Loop: Header=BB2_16 Depth=1
	v_bfe_u32 v4, v13, 20, 1
	s_delay_alu instid0(VALU_DEP_1) | instskip(NEXT) | instid1(VALU_DEP_1)
	v_add_co_u32 v4, s0, v13, v4
	v_add_co_u32 v15, s0, v4, -1
; %bb.33:                               ;   in Loop: Header=BB2_16 Depth=1
	s_or_b32 exec_lo, exec_lo, s10
	v_add_nc_u32_e32 v4, 0xffffff81, v25
	v_lshrrev_b32_e32 v9, 23, v13
	s_mov_b32 s0, exec_lo
	s_delay_alu instid0(VALU_DEP_2) | instskip(NEXT) | instid1(VALU_DEP_1)
	v_cndmask_b32_e64 v4, v4, 0xffffff82, vcc_lo
	v_add3_u32 v9, v26, v4, v9
	v_and_b32_e32 v4, 0xfffff, v15
	s_delay_alu instid0(VALU_DEP_2) | instskip(NEXT) | instid1(VALU_DEP_2)
	v_add_nc_u32_e32 v15, 7, v9
	v_add_co_u32 v13, vcc_lo, v4, v13
	v_add_co_ci_u32_e32 v14, vcc_lo, 0, v14, vcc_lo
                                        ; implicit-def: $vgpr4
	s_delay_alu instid0(VALU_DEP_3)
	v_cmpx_ne_u32_e32 0, v15
	s_xor_b32 s0, exec_lo, s0
; %bb.34:                               ;   in Loop: Header=BB2_16 Depth=1
	s_delay_alu instid0(VALU_DEP_2) | instskip(SKIP_2) | instid1(VALU_DEP_2)
	v_cmp_lt_u64_e32 vcc_lo, 0xffffff, v[13:14]
	v_add_nc_u32_e32 v4, 8, v9
	v_cndmask_b32_e64 v9, 0, 1, vcc_lo
	v_cndmask_b32_e32 v4, v15, v4, vcc_lo
	s_delay_alu instid0(VALU_DEP_2)
	v_lshrrev_b64 v[13:14], v9, v[13:14]
; %bb.35:                               ;   in Loop: Header=BB2_16 Depth=1
	s_and_not1_saveexec_b32 s0, s0
; %bb.36:                               ;   in Loop: Header=BB2_16 Depth=1
	s_delay_alu instid0(VALU_DEP_1)
	v_bfe_u32 v4, v13, 23, 1
; %bb.37:                               ;   in Loop: Header=BB2_16 Depth=1
	s_or_b32 exec_lo, exec_lo, s0
	s_delay_alu instid0(VALU_DEP_2) | instskip(NEXT) | instid1(VALU_DEP_2)
	v_lshrrev_b64 v[13:14], 20, v[13:14]
	v_cmp_gt_i32_e32 vcc_lo, 16, v4
	v_and_b32_e32 v0, 0x80, v0
	v_min_i32_e32 v9, 15, v4
	v_cmp_eq_u32_e64 s0, 0, v4
	v_dual_cndmask_b32 v13, 7, v13 :: v_dual_cndmask_b32 v14, 0, v14
	s_delay_alu instid0(VALU_DEP_3) | instskip(NEXT) | instid1(VALU_DEP_2)
	v_lshl_or_b32 v0, v9, 3, v0
	v_cmp_eq_u64_e32 vcc_lo, 0, v[13:14]
	s_delay_alu instid0(VALU_DEP_2)
	v_and_or_b32 v0, v13, 7, v0
	s_and_b32 s0, s0, vcc_lo
	s_delay_alu instid0(VALU_DEP_1) | instid1(SALU_CYCLE_1)
	v_cndmask_b32_e64 v25, v0, 0, s0
.LBB2_38:                               ;   in Loop: Header=BB2_16 Depth=1
	s_or_b32 exec_lo, exec_lo, s9
.LBB2_39:                               ;   in Loop: Header=BB2_16 Depth=1
	s_and_not1_saveexec_b32 s0, s8
	s_delay_alu instid0(SALU_CYCLE_1)
	s_or_b32 exec_lo, exec_lo, s0
.LBB2_40:                               ;   in Loop: Header=BB2_16 Depth=1
	s_and_not1_saveexec_b32 s0, s7
	s_delay_alu instid0(SALU_CYCLE_1) | instskip(SKIP_3) | instid1(VALU_DEP_2)
	s_or_b32 exec_lo, exec_lo, s0
	v_lshrrev_b32_e32 v0, 16, v5
	v_lshrrev_b32_e32 v4, 16, v1
	s_mov_b32 s0, exec_lo
	v_cvt_f32_f16_e32 v0, v0
	s_delay_alu instid0(VALU_DEP_2) | instskip(NEXT) | instid1(VALU_DEP_1)
	v_cvt_f32_f16_e32 v4, v4
	v_mul_f32_e32 v0, v0, v4
	s_delay_alu instid0(VALU_DEP_1) | instskip(NEXT) | instid1(VALU_DEP_1)
	v_mul_f32_e32 v4, v19, v0
	v_lshrrev_b32_e32 v0, 24, v4
	v_and_b32_e32 v9, 0x7f800000, v4
	s_delay_alu instid0(VALU_DEP_2) | instskip(NEXT) | instid1(VALU_DEP_2)
	v_or_b32_e32 v13, 0x7f, v0
	v_cmpx_ne_u64_e32 0x7f800000, v[9:10]
	s_xor_b32 s7, exec_lo, s0
	s_cbranch_execz .LBB2_52
; %bb.41:                               ;   in Loop: Header=BB2_16 Depth=1
	v_and_b32_e32 v9, 0x7fffffff, v4
	s_mov_b32 s0, exec_lo
	s_delay_alu instid0(VALU_DEP_1)
	v_cmpx_gt_u64_e32 0x43700001, v[9:10]
	s_xor_b32 s8, exec_lo, s0
	s_cbranch_execz .LBB2_51
; %bb.42:                               ;   in Loop: Header=BB2_16 Depth=1
	v_mov_b32_e32 v13, 0
	s_mov_b32 s9, exec_lo
	v_cmpx_ne_u32_e32 0, v4
	s_cbranch_execz .LBB2_50
; %bb.43:                               ;   in Loop: Header=BB2_16 Depth=1
	v_bfe_u32 v26, v4, 23, 8
	v_and_b32_e32 v4, 0x7fffff, v4
	v_mov_b32_e32 v16, v10
	s_delay_alu instid0(VALU_DEP_3) | instskip(SKIP_1) | instid1(VALU_DEP_4)
	v_sub_nc_u32_e32 v9, 0x78, v26
	v_cmp_gt_u32_e32 vcc_lo, 0x79, v26
	v_or_b32_e32 v15, 0x800000, v4
	s_delay_alu instid0(VALU_DEP_3) | instskip(SKIP_1) | instid1(VALU_DEP_2)
	v_cndmask_b32_e32 v9, 0, v9, vcc_lo
	v_cmp_eq_u32_e32 vcc_lo, 0, v26
	v_cndmask_b32_e64 v27, v9, 0x77, vcc_lo
	s_delay_alu instid0(VALU_DEP_1) | instskip(NEXT) | instid1(VALU_DEP_1)
	v_add_nc_u32_e32 v9, 20, v27
	v_lshlrev_b64 v[13:14], v9, -1
	v_dual_cndmask_b32 v9, v15, v4 :: v_dual_add_nc_u32 v4, 19, v27
	s_delay_alu instid0(VALU_DEP_2) | instskip(NEXT) | instid1(VALU_DEP_2)
	v_not_b32_e32 v13, v13
	v_lshlrev_b64 v[28:29], v4, 1
	s_delay_alu instid0(VALU_DEP_2) | instskip(SKIP_1) | instid1(VALU_DEP_2)
	v_and_b32_e32 v15, v9, v13
	v_lshrrev_b64 v[13:14], v27, v[9:10]
	v_cmp_eq_u64_e64 s0, v[15:16], v[28:29]
	s_delay_alu instid0(VALU_DEP_2) | instskip(NEXT) | instid1(VALU_DEP_2)
	v_dual_mov_b32 v16, v14 :: v_dual_mov_b32 v15, v13
	s_and_saveexec_b32 s10, s0
; %bb.44:                               ;   in Loop: Header=BB2_16 Depth=1
	v_bfe_u32 v4, v13, 20, 1
	s_delay_alu instid0(VALU_DEP_1) | instskip(NEXT) | instid1(VALU_DEP_1)
	v_add_co_u32 v4, s0, v13, v4
	v_add_co_u32 v15, s0, v4, -1
; %bb.45:                               ;   in Loop: Header=BB2_16 Depth=1
	s_or_b32 exec_lo, exec_lo, s10
	v_add_nc_u32_e32 v4, 0xffffff81, v26
	v_lshrrev_b32_e32 v9, 23, v13
	s_mov_b32 s0, exec_lo
	s_delay_alu instid0(VALU_DEP_2) | instskip(NEXT) | instid1(VALU_DEP_1)
	v_cndmask_b32_e64 v4, v4, 0xffffff82, vcc_lo
	v_add3_u32 v9, v27, v4, v9
	v_and_b32_e32 v4, 0xfffff, v15
	s_delay_alu instid0(VALU_DEP_2) | instskip(NEXT) | instid1(VALU_DEP_2)
	v_add_nc_u32_e32 v15, 7, v9
	v_add_co_u32 v13, vcc_lo, v4, v13
	v_add_co_ci_u32_e32 v14, vcc_lo, 0, v14, vcc_lo
                                        ; implicit-def: $vgpr4
	s_delay_alu instid0(VALU_DEP_3)
	v_cmpx_ne_u32_e32 0, v15
	s_xor_b32 s0, exec_lo, s0
; %bb.46:                               ;   in Loop: Header=BB2_16 Depth=1
	s_delay_alu instid0(VALU_DEP_2) | instskip(SKIP_2) | instid1(VALU_DEP_2)
	v_cmp_lt_u64_e32 vcc_lo, 0xffffff, v[13:14]
	v_add_nc_u32_e32 v4, 8, v9
	v_cndmask_b32_e64 v9, 0, 1, vcc_lo
	v_cndmask_b32_e32 v4, v15, v4, vcc_lo
	s_delay_alu instid0(VALU_DEP_2)
	v_lshrrev_b64 v[13:14], v9, v[13:14]
; %bb.47:                               ;   in Loop: Header=BB2_16 Depth=1
	s_and_not1_saveexec_b32 s0, s0
; %bb.48:                               ;   in Loop: Header=BB2_16 Depth=1
	s_delay_alu instid0(VALU_DEP_1)
	v_bfe_u32 v4, v13, 23, 1
; %bb.49:                               ;   in Loop: Header=BB2_16 Depth=1
	s_or_b32 exec_lo, exec_lo, s0
	s_delay_alu instid0(VALU_DEP_2) | instskip(NEXT) | instid1(VALU_DEP_2)
	v_lshrrev_b64 v[13:14], 20, v[13:14]
	v_cmp_gt_i32_e32 vcc_lo, 16, v4
	v_and_b32_e32 v0, 0x80, v0
	v_min_i32_e32 v9, 15, v4
	v_cmp_eq_u32_e64 s0, 0, v4
	v_dual_cndmask_b32 v13, 7, v13 :: v_dual_cndmask_b32 v14, 0, v14
	s_delay_alu instid0(VALU_DEP_3) | instskip(NEXT) | instid1(VALU_DEP_2)
	v_lshl_or_b32 v0, v9, 3, v0
	v_cmp_eq_u64_e32 vcc_lo, 0, v[13:14]
	s_delay_alu instid0(VALU_DEP_2)
	v_and_or_b32 v0, v13, 7, v0
	s_and_b32 s0, s0, vcc_lo
	s_delay_alu instid0(VALU_DEP_1) | instid1(SALU_CYCLE_1)
	v_cndmask_b32_e64 v13, v0, 0, s0
.LBB2_50:                               ;   in Loop: Header=BB2_16 Depth=1
	s_or_b32 exec_lo, exec_lo, s9
.LBB2_51:                               ;   in Loop: Header=BB2_16 Depth=1
	s_and_not1_saveexec_b32 s0, s8
	s_delay_alu instid0(SALU_CYCLE_1)
	s_or_b32 exec_lo, exec_lo, s0
.LBB2_52:                               ;   in Loop: Header=BB2_16 Depth=1
	s_and_not1_saveexec_b32 s0, s7
	s_delay_alu instid0(SALU_CYCLE_1) | instskip(SKIP_3) | instid1(VALU_DEP_1)
	s_or_b32 exec_lo, exec_lo, s0
	v_cvt_f32_f16_e32 v0, v5
	v_cvt_f32_f16_e32 v1, v1
	s_mov_b32 s0, exec_lo
	v_mul_f32_e32 v0, v0, v1
	s_delay_alu instid0(VALU_DEP_1) | instskip(NEXT) | instid1(VALU_DEP_1)
	v_mul_f32_e32 v0, v19, v0
	v_lshrrev_b32_e32 v15, 24, v0
	v_and_b32_e32 v9, 0x7f800000, v0
	s_delay_alu instid0(VALU_DEP_2) | instskip(NEXT) | instid1(VALU_DEP_2)
	v_or_b32_e32 v14, 0x7f, v15
	v_cmpx_ne_u64_e32 0x7f800000, v[9:10]
	s_xor_b32 s7, exec_lo, s0
	s_cbranch_execz .LBB2_64
; %bb.53:                               ;   in Loop: Header=BB2_16 Depth=1
	v_and_b32_e32 v9, 0x7fffffff, v0
	s_mov_b32 s0, exec_lo
	s_delay_alu instid0(VALU_DEP_1)
	v_cmpx_gt_u64_e32 0x43700001, v[9:10]
	s_xor_b32 s8, exec_lo, s0
	s_cbranch_execz .LBB2_63
; %bb.54:                               ;   in Loop: Header=BB2_16 Depth=1
	v_mov_b32_e32 v14, 0
	s_mov_b32 s9, exec_lo
	v_cmpx_ne_u32_e32 0, v0
	s_cbranch_execz .LBB2_62
; %bb.55:                               ;   in Loop: Header=BB2_16 Depth=1
	v_bfe_u32 v14, v0, 23, 8
	v_and_b32_e32 v4, 0x7fffff, v0
	s_delay_alu instid0(VALU_DEP_2) | instskip(SKIP_1) | instid1(VALU_DEP_3)
	v_sub_nc_u32_e32 v1, 0x78, v14
	v_cmp_gt_u32_e32 vcc_lo, 0x79, v14
	v_or_b32_e32 v5, 0x800000, v4
	s_delay_alu instid0(VALU_DEP_3) | instskip(SKIP_1) | instid1(VALU_DEP_2)
	v_cndmask_b32_e32 v1, 0, v1, vcc_lo
	v_cmp_eq_u32_e32 vcc_lo, 0, v14
	v_cndmask_b32_e64 v16, v1, 0x77, vcc_lo
	s_delay_alu instid0(VALU_DEP_4) | instskip(NEXT) | instid1(VALU_DEP_2)
	v_cndmask_b32_e32 v9, v5, v4, vcc_lo
	v_dual_mov_b32 v5, v10 :: v_dual_add_nc_u32 v0, 20, v16
	s_delay_alu instid0(VALU_DEP_1) | instskip(SKIP_1) | instid1(VALU_DEP_2)
	v_lshlrev_b64 v[0:1], v0, -1
	v_add_nc_u32_e32 v1, 19, v16
	v_not_b32_e32 v0, v0
	s_delay_alu instid0(VALU_DEP_2) | instskip(NEXT) | instid1(VALU_DEP_2)
	v_lshlrev_b64 v[26:27], v1, 1
	v_and_b32_e32 v4, v9, v0
	v_lshrrev_b64 v[0:1], v16, v[9:10]
	s_delay_alu instid0(VALU_DEP_2) | instskip(NEXT) | instid1(VALU_DEP_2)
	v_cmp_eq_u64_e64 s0, v[4:5], v[26:27]
	v_dual_mov_b32 v5, v1 :: v_dual_mov_b32 v4, v0
	s_delay_alu instid0(VALU_DEP_2)
	s_and_saveexec_b32 s10, s0
; %bb.56:                               ;   in Loop: Header=BB2_16 Depth=1
	v_bfe_u32 v4, v0, 20, 1
	s_delay_alu instid0(VALU_DEP_1) | instskip(NEXT) | instid1(VALU_DEP_1)
	v_add_co_u32 v4, s0, v0, v4
	v_add_co_u32 v4, s0, v4, -1
; %bb.57:                               ;   in Loop: Header=BB2_16 Depth=1
	s_or_b32 exec_lo, exec_lo, s10
	v_add_nc_u32_e32 v5, 0xffffff81, v14
	v_lshrrev_b32_e32 v9, 23, v0
	s_delay_alu instid0(VALU_DEP_3) | instskip(SKIP_1) | instid1(VALU_DEP_3)
	v_and_b32_e32 v4, 0xfffff, v4
	s_mov_b32 s0, exec_lo
	v_cndmask_b32_e64 v5, v5, 0xffffff82, vcc_lo
	s_delay_alu instid0(VALU_DEP_2) | instskip(SKIP_1) | instid1(VALU_DEP_3)
	v_add_co_u32 v0, vcc_lo, v4, v0
	v_add_co_ci_u32_e32 v1, vcc_lo, 0, v1, vcc_lo
	v_add3_u32 v5, v16, v5, v9
                                        ; implicit-def: $vgpr4
	s_delay_alu instid0(VALU_DEP_1) | instskip(NEXT) | instid1(VALU_DEP_1)
	v_add_nc_u32_e32 v9, 7, v5
	v_cmpx_ne_u32_e32 0, v9
	s_xor_b32 s0, exec_lo, s0
; %bb.58:                               ;   in Loop: Header=BB2_16 Depth=1
	v_cmp_lt_u64_e32 vcc_lo, 0xffffff, v[0:1]
	v_add_nc_u32_e32 v4, 8, v5
	v_cndmask_b32_e64 v5, 0, 1, vcc_lo
	s_delay_alu instid0(VALU_DEP_2) | instskip(NEXT) | instid1(VALU_DEP_2)
	v_cndmask_b32_e32 v4, v9, v4, vcc_lo
	v_lshrrev_b64 v[0:1], v5, v[0:1]
; %bb.59:                               ;   in Loop: Header=BB2_16 Depth=1
	s_and_not1_saveexec_b32 s0, s0
; %bb.60:                               ;   in Loop: Header=BB2_16 Depth=1
	s_delay_alu instid0(VALU_DEP_1)
	v_bfe_u32 v4, v0, 23, 1
; %bb.61:                               ;   in Loop: Header=BB2_16 Depth=1
	s_or_b32 exec_lo, exec_lo, s0
	s_delay_alu instid0(VALU_DEP_2) | instskip(NEXT) | instid1(VALU_DEP_2)
	v_lshrrev_b64 v[0:1], 20, v[0:1]
	v_cmp_gt_i32_e32 vcc_lo, 16, v4
	v_and_b32_e32 v5, 0x80, v15
	v_min_i32_e32 v9, 15, v4
	v_cmp_eq_u32_e64 s0, 0, v4
	v_dual_cndmask_b32 v0, 7, v0 :: v_dual_cndmask_b32 v1, 0, v1
	s_delay_alu instid0(VALU_DEP_3) | instskip(NEXT) | instid1(VALU_DEP_2)
	v_lshl_or_b32 v5, v9, 3, v5
	v_cmp_eq_u64_e32 vcc_lo, 0, v[0:1]
	s_delay_alu instid0(VALU_DEP_2)
	v_and_or_b32 v0, v0, 7, v5
	s_and_b32 s0, s0, vcc_lo
	s_delay_alu instid0(VALU_DEP_1) | instid1(SALU_CYCLE_1)
	v_cndmask_b32_e64 v14, v0, 0, s0
.LBB2_62:                               ;   in Loop: Header=BB2_16 Depth=1
	s_or_b32 exec_lo, exec_lo, s9
.LBB2_63:                               ;   in Loop: Header=BB2_16 Depth=1
	s_and_not1_saveexec_b32 s0, s8
	s_delay_alu instid0(SALU_CYCLE_1)
	s_or_b32 exec_lo, exec_lo, s0
.LBB2_64:                               ;   in Loop: Header=BB2_16 Depth=1
	s_and_not1_saveexec_b32 s0, s7
	s_delay_alu instid0(SALU_CYCLE_1) | instskip(SKIP_3) | instid1(VALU_DEP_2)
	s_or_b32 exec_lo, exec_lo, s0
	v_lshrrev_b32_e32 v0, 16, v6
	v_lshrrev_b32_e32 v1, 16, v2
	s_mov_b32 s0, exec_lo
	v_cvt_f32_f16_e32 v0, v0
	s_delay_alu instid0(VALU_DEP_2) | instskip(NEXT) | instid1(VALU_DEP_1)
	v_cvt_f32_f16_e32 v1, v1
	v_mul_f32_e32 v0, v0, v1
	s_delay_alu instid0(VALU_DEP_1) | instskip(NEXT) | instid1(VALU_DEP_1)
	v_mul_f32_e32 v0, v19, v0
	v_lshrrev_b32_e32 v16, 24, v0
	v_and_b32_e32 v9, 0x7f800000, v0
	s_delay_alu instid0(VALU_DEP_2) | instskip(NEXT) | instid1(VALU_DEP_2)
	v_or_b32_e32 v15, 0x7f, v16
	v_cmpx_ne_u64_e32 0x7f800000, v[9:10]
	s_xor_b32 s7, exec_lo, s0
	s_cbranch_execz .LBB2_76
; %bb.65:                               ;   in Loop: Header=BB2_16 Depth=1
	v_and_b32_e32 v9, 0x7fffffff, v0
	s_mov_b32 s0, exec_lo
	s_delay_alu instid0(VALU_DEP_1)
	v_cmpx_gt_u64_e32 0x43700001, v[9:10]
	s_xor_b32 s8, exec_lo, s0
	s_cbranch_execz .LBB2_75
; %bb.66:                               ;   in Loop: Header=BB2_16 Depth=1
	v_mov_b32_e32 v15, 0
	s_mov_b32 s9, exec_lo
	v_cmpx_ne_u32_e32 0, v0
	s_cbranch_execz .LBB2_74
; %bb.67:                               ;   in Loop: Header=BB2_16 Depth=1
	v_bfe_u32 v15, v0, 23, 8
	v_and_b32_e32 v4, 0x7fffff, v0
	s_delay_alu instid0(VALU_DEP_2) | instskip(SKIP_1) | instid1(VALU_DEP_3)
	v_sub_nc_u32_e32 v1, 0x78, v15
	v_cmp_gt_u32_e32 vcc_lo, 0x79, v15
	v_or_b32_e32 v5, 0x800000, v4
	s_delay_alu instid0(VALU_DEP_3) | instskip(SKIP_1) | instid1(VALU_DEP_2)
	v_cndmask_b32_e32 v1, 0, v1, vcc_lo
	v_cmp_eq_u32_e32 vcc_lo, 0, v15
	v_cndmask_b32_e64 v26, v1, 0x77, vcc_lo
	s_delay_alu instid0(VALU_DEP_1) | instskip(NEXT) | instid1(VALU_DEP_1)
	v_dual_cndmask_b32 v9, v5, v4 :: v_dual_add_nc_u32 v0, 20, v26
	v_lshlrev_b64 v[0:1], v0, -1
	v_add_nc_u32_e32 v1, 19, v26
	s_delay_alu instid0(VALU_DEP_2) | instskip(NEXT) | instid1(VALU_DEP_2)
	v_not_b32_e32 v0, v0
	v_lshlrev_b64 v[27:28], v1, 1
	s_delay_alu instid0(VALU_DEP_2) | instskip(SKIP_1) | instid1(VALU_DEP_2)
	v_dual_mov_b32 v5, v10 :: v_dual_and_b32 v4, v9, v0
	v_lshrrev_b64 v[0:1], v26, v[9:10]
	v_cmp_eq_u64_e64 s0, v[4:5], v[27:28]
	s_delay_alu instid0(VALU_DEP_2) | instskip(NEXT) | instid1(VALU_DEP_2)
	v_dual_mov_b32 v5, v1 :: v_dual_mov_b32 v4, v0
	s_and_saveexec_b32 s10, s0
; %bb.68:                               ;   in Loop: Header=BB2_16 Depth=1
	v_bfe_u32 v4, v0, 20, 1
	s_delay_alu instid0(VALU_DEP_1) | instskip(NEXT) | instid1(VALU_DEP_1)
	v_add_co_u32 v4, s0, v0, v4
	v_add_co_u32 v4, s0, v4, -1
; %bb.69:                               ;   in Loop: Header=BB2_16 Depth=1
	s_or_b32 exec_lo, exec_lo, s10
	v_add_nc_u32_e32 v5, 0xffffff81, v15
	v_lshrrev_b32_e32 v9, 23, v0
	s_delay_alu instid0(VALU_DEP_3) | instskip(SKIP_1) | instid1(VALU_DEP_3)
	v_and_b32_e32 v4, 0xfffff, v4
	s_mov_b32 s0, exec_lo
	v_cndmask_b32_e64 v5, v5, 0xffffff82, vcc_lo
	s_delay_alu instid0(VALU_DEP_2) | instskip(SKIP_1) | instid1(VALU_DEP_3)
	v_add_co_u32 v0, vcc_lo, v4, v0
	v_add_co_ci_u32_e32 v1, vcc_lo, 0, v1, vcc_lo
	v_add3_u32 v5, v26, v5, v9
                                        ; implicit-def: $vgpr4
	s_delay_alu instid0(VALU_DEP_1) | instskip(NEXT) | instid1(VALU_DEP_1)
	v_add_nc_u32_e32 v9, 7, v5
	v_cmpx_ne_u32_e32 0, v9
	s_xor_b32 s0, exec_lo, s0
; %bb.70:                               ;   in Loop: Header=BB2_16 Depth=1
	v_cmp_lt_u64_e32 vcc_lo, 0xffffff, v[0:1]
	v_add_nc_u32_e32 v4, 8, v5
	v_cndmask_b32_e64 v5, 0, 1, vcc_lo
	s_delay_alu instid0(VALU_DEP_2) | instskip(NEXT) | instid1(VALU_DEP_2)
	v_cndmask_b32_e32 v4, v9, v4, vcc_lo
	v_lshrrev_b64 v[0:1], v5, v[0:1]
; %bb.71:                               ;   in Loop: Header=BB2_16 Depth=1
	s_and_not1_saveexec_b32 s0, s0
; %bb.72:                               ;   in Loop: Header=BB2_16 Depth=1
	s_delay_alu instid0(VALU_DEP_1)
	v_bfe_u32 v4, v0, 23, 1
; %bb.73:                               ;   in Loop: Header=BB2_16 Depth=1
	s_or_b32 exec_lo, exec_lo, s0
	s_delay_alu instid0(VALU_DEP_2) | instskip(NEXT) | instid1(VALU_DEP_2)
	v_lshrrev_b64 v[0:1], 20, v[0:1]
	v_cmp_gt_i32_e32 vcc_lo, 16, v4
	v_and_b32_e32 v5, 0x80, v16
	v_min_i32_e32 v9, 15, v4
	v_cmp_eq_u32_e64 s0, 0, v4
	v_dual_cndmask_b32 v1, 0, v1 :: v_dual_cndmask_b32 v0, 7, v0
	s_delay_alu instid0(VALU_DEP_3) | instskip(NEXT) | instid1(VALU_DEP_2)
	v_lshl_or_b32 v5, v9, 3, v5
	v_cmp_eq_u64_e32 vcc_lo, 0, v[0:1]
	s_delay_alu instid0(VALU_DEP_2)
	v_and_or_b32 v0, v0, 7, v5
	s_and_b32 s0, s0, vcc_lo
	s_delay_alu instid0(VALU_DEP_1) | instid1(SALU_CYCLE_1)
	v_cndmask_b32_e64 v15, v0, 0, s0
.LBB2_74:                               ;   in Loop: Header=BB2_16 Depth=1
	s_or_b32 exec_lo, exec_lo, s9
.LBB2_75:                               ;   in Loop: Header=BB2_16 Depth=1
	s_and_not1_saveexec_b32 s0, s8
	s_delay_alu instid0(SALU_CYCLE_1)
	s_or_b32 exec_lo, exec_lo, s0
.LBB2_76:                               ;   in Loop: Header=BB2_16 Depth=1
	s_and_not1_saveexec_b32 s0, s7
	s_delay_alu instid0(SALU_CYCLE_1) | instskip(SKIP_3) | instid1(VALU_DEP_1)
	s_or_b32 exec_lo, exec_lo, s0
	v_cvt_f32_f16_e32 v0, v6
	v_cvt_f32_f16_e32 v1, v2
	s_mov_b32 s0, exec_lo
	v_mul_f32_e32 v0, v0, v1
	s_delay_alu instid0(VALU_DEP_1) | instskip(NEXT) | instid1(VALU_DEP_1)
	v_mul_f32_e32 v0, v19, v0
	v_lshrrev_b32_e32 v2, 24, v0
	v_and_b32_e32 v9, 0x7f800000, v0
	s_delay_alu instid0(VALU_DEP_2) | instskip(NEXT) | instid1(VALU_DEP_2)
	v_or_b32_e32 v6, 0x7f, v2
	v_cmpx_ne_u64_e32 0x7f800000, v[9:10]
	s_xor_b32 s7, exec_lo, s0
	s_cbranch_execz .LBB2_88
; %bb.77:                               ;   in Loop: Header=BB2_16 Depth=1
	v_and_b32_e32 v9, 0x7fffffff, v0
	s_mov_b32 s0, exec_lo
	s_delay_alu instid0(VALU_DEP_1)
	v_cmpx_gt_u64_e32 0x43700001, v[9:10]
	s_xor_b32 s8, exec_lo, s0
	s_cbranch_execz .LBB2_87
; %bb.78:                               ;   in Loop: Header=BB2_16 Depth=1
	v_mov_b32_e32 v6, 0
	s_mov_b32 s9, exec_lo
	v_cmpx_ne_u32_e32 0, v0
	s_cbranch_execz .LBB2_86
; %bb.79:                               ;   in Loop: Header=BB2_16 Depth=1
	v_bfe_u32 v6, v0, 23, 8
	v_and_b32_e32 v4, 0x7fffff, v0
	s_delay_alu instid0(VALU_DEP_2) | instskip(SKIP_1) | instid1(VALU_DEP_3)
	v_sub_nc_u32_e32 v1, 0x78, v6
	v_cmp_gt_u32_e32 vcc_lo, 0x79, v6
	v_or_b32_e32 v5, 0x800000, v4
	s_delay_alu instid0(VALU_DEP_3) | instskip(SKIP_1) | instid1(VALU_DEP_2)
	v_cndmask_b32_e32 v1, 0, v1, vcc_lo
	v_cmp_eq_u32_e32 vcc_lo, 0, v6
	v_cndmask_b32_e64 v16, v1, 0x77, vcc_lo
	s_delay_alu instid0(VALU_DEP_4) | instskip(NEXT) | instid1(VALU_DEP_2)
	v_cndmask_b32_e32 v9, v5, v4, vcc_lo
	v_dual_mov_b32 v5, v10 :: v_dual_add_nc_u32 v0, 20, v16
	s_delay_alu instid0(VALU_DEP_1) | instskip(SKIP_1) | instid1(VALU_DEP_2)
	v_lshlrev_b64 v[0:1], v0, -1
	v_add_nc_u32_e32 v1, 19, v16
	v_not_b32_e32 v0, v0
	s_delay_alu instid0(VALU_DEP_2) | instskip(NEXT) | instid1(VALU_DEP_2)
	v_lshlrev_b64 v[26:27], v1, 1
	v_and_b32_e32 v4, v9, v0
	v_lshrrev_b64 v[0:1], v16, v[9:10]
	s_delay_alu instid0(VALU_DEP_2) | instskip(NEXT) | instid1(VALU_DEP_2)
	v_cmp_eq_u64_e64 s0, v[4:5], v[26:27]
	v_dual_mov_b32 v5, v1 :: v_dual_mov_b32 v4, v0
	s_delay_alu instid0(VALU_DEP_2)
	s_and_saveexec_b32 s10, s0
; %bb.80:                               ;   in Loop: Header=BB2_16 Depth=1
	v_bfe_u32 v4, v0, 20, 1
	s_delay_alu instid0(VALU_DEP_1) | instskip(NEXT) | instid1(VALU_DEP_1)
	v_add_co_u32 v4, s0, v0, v4
	v_add_co_u32 v4, s0, v4, -1
; %bb.81:                               ;   in Loop: Header=BB2_16 Depth=1
	s_or_b32 exec_lo, exec_lo, s10
	v_add_nc_u32_e32 v5, 0xffffff81, v6
	v_lshrrev_b32_e32 v6, 23, v0
	s_delay_alu instid0(VALU_DEP_3) | instskip(SKIP_1) | instid1(VALU_DEP_3)
	v_and_b32_e32 v4, 0xfffff, v4
	s_mov_b32 s0, exec_lo
	v_cndmask_b32_e64 v5, v5, 0xffffff82, vcc_lo
	s_delay_alu instid0(VALU_DEP_2) | instskip(SKIP_1) | instid1(VALU_DEP_3)
	v_add_co_u32 v0, vcc_lo, v4, v0
	v_add_co_ci_u32_e32 v1, vcc_lo, 0, v1, vcc_lo
	v_add3_u32 v5, v16, v5, v6
                                        ; implicit-def: $vgpr4
	s_delay_alu instid0(VALU_DEP_1) | instskip(NEXT) | instid1(VALU_DEP_1)
	v_add_nc_u32_e32 v6, 7, v5
	v_cmpx_ne_u32_e32 0, v6
	s_xor_b32 s0, exec_lo, s0
; %bb.82:                               ;   in Loop: Header=BB2_16 Depth=1
	v_cmp_lt_u64_e32 vcc_lo, 0xffffff, v[0:1]
	v_add_nc_u32_e32 v4, 8, v5
	v_cndmask_b32_e64 v5, 0, 1, vcc_lo
	s_delay_alu instid0(VALU_DEP_2) | instskip(NEXT) | instid1(VALU_DEP_2)
	v_cndmask_b32_e32 v4, v6, v4, vcc_lo
	v_lshrrev_b64 v[0:1], v5, v[0:1]
; %bb.83:                               ;   in Loop: Header=BB2_16 Depth=1
	s_and_not1_saveexec_b32 s0, s0
; %bb.84:                               ;   in Loop: Header=BB2_16 Depth=1
	s_delay_alu instid0(VALU_DEP_1)
	v_bfe_u32 v4, v0, 23, 1
; %bb.85:                               ;   in Loop: Header=BB2_16 Depth=1
	s_or_b32 exec_lo, exec_lo, s0
	s_delay_alu instid0(VALU_DEP_2) | instskip(NEXT) | instid1(VALU_DEP_2)
	v_lshrrev_b64 v[0:1], 20, v[0:1]
	v_cmp_gt_i32_e32 vcc_lo, 16, v4
	v_and_b32_e32 v2, 0x80, v2
	v_min_i32_e32 v5, 15, v4
	v_cmp_eq_u32_e64 s0, 0, v4
	v_dual_cndmask_b32 v1, 0, v1 :: v_dual_cndmask_b32 v0, 7, v0
	s_delay_alu instid0(VALU_DEP_3) | instskip(NEXT) | instid1(VALU_DEP_2)
	v_lshl_or_b32 v2, v5, 3, v2
	v_cmp_eq_u64_e32 vcc_lo, 0, v[0:1]
	s_delay_alu instid0(VALU_DEP_2)
	v_and_or_b32 v0, v0, 7, v2
	s_and_b32 s0, s0, vcc_lo
	s_delay_alu instid0(VALU_DEP_1) | instid1(SALU_CYCLE_1)
	v_cndmask_b32_e64 v6, v0, 0, s0
.LBB2_86:                               ;   in Loop: Header=BB2_16 Depth=1
	s_or_b32 exec_lo, exec_lo, s9
.LBB2_87:                               ;   in Loop: Header=BB2_16 Depth=1
	s_and_not1_saveexec_b32 s0, s8
	s_delay_alu instid0(SALU_CYCLE_1)
	s_or_b32 exec_lo, exec_lo, s0
.LBB2_88:                               ;   in Loop: Header=BB2_16 Depth=1
	s_and_not1_saveexec_b32 s0, s7
	s_delay_alu instid0(SALU_CYCLE_1) | instskip(SKIP_3) | instid1(VALU_DEP_2)
	s_or_b32 exec_lo, exec_lo, s0
	v_lshrrev_b32_e32 v0, 16, v7
	v_lshrrev_b32_e32 v1, 16, v3
	s_mov_b32 s0, exec_lo
	v_cvt_f32_f16_e32 v0, v0
	s_delay_alu instid0(VALU_DEP_2) | instskip(NEXT) | instid1(VALU_DEP_1)
	v_cvt_f32_f16_e32 v1, v1
	v_mul_f32_e32 v0, v0, v1
	s_delay_alu instid0(VALU_DEP_1) | instskip(NEXT) | instid1(VALU_DEP_1)
	v_mul_f32_e32 v0, v19, v0
	v_lshrrev_b32_e32 v2, 24, v0
	v_and_b32_e32 v9, 0x7f800000, v0
	s_delay_alu instid0(VALU_DEP_2) | instskip(NEXT) | instid1(VALU_DEP_2)
	v_or_b32_e32 v4, 0x7f, v2
	v_cmpx_ne_u64_e32 0x7f800000, v[9:10]
	s_xor_b32 s7, exec_lo, s0
	s_cbranch_execz .LBB2_100
; %bb.89:                               ;   in Loop: Header=BB2_16 Depth=1
	v_and_b32_e32 v9, 0x7fffffff, v0
	s_mov_b32 s0, exec_lo
	s_delay_alu instid0(VALU_DEP_1)
	v_cmpx_gt_u64_e32 0x43700001, v[9:10]
	s_xor_b32 s8, exec_lo, s0
	s_cbranch_execz .LBB2_99
; %bb.90:                               ;   in Loop: Header=BB2_16 Depth=1
	v_mov_b32_e32 v4, 0
	s_mov_b32 s9, exec_lo
	v_cmpx_ne_u32_e32 0, v0
	s_cbranch_execz .LBB2_98
; %bb.91:                               ;   in Loop: Header=BB2_16 Depth=1
	v_bfe_u32 v16, v0, 23, 8
	v_and_b32_e32 v4, 0x7fffff, v0
	s_delay_alu instid0(VALU_DEP_2) | instskip(SKIP_1) | instid1(VALU_DEP_3)
	v_sub_nc_u32_e32 v1, 0x78, v16
	v_cmp_gt_u32_e32 vcc_lo, 0x79, v16
	v_or_b32_e32 v5, 0x800000, v4
	s_delay_alu instid0(VALU_DEP_3) | instskip(SKIP_1) | instid1(VALU_DEP_2)
	v_cndmask_b32_e32 v1, 0, v1, vcc_lo
	v_cmp_eq_u32_e32 vcc_lo, 0, v16
	v_cndmask_b32_e64 v26, v1, 0x77, vcc_lo
	s_delay_alu instid0(VALU_DEP_1) | instskip(NEXT) | instid1(VALU_DEP_1)
	v_dual_cndmask_b32 v9, v5, v4 :: v_dual_add_nc_u32 v0, 20, v26
	v_lshlrev_b64 v[0:1], v0, -1
	v_add_nc_u32_e32 v1, 19, v26
	s_delay_alu instid0(VALU_DEP_2) | instskip(NEXT) | instid1(VALU_DEP_2)
	v_not_b32_e32 v0, v0
	v_lshlrev_b64 v[27:28], v1, 1
	s_delay_alu instid0(VALU_DEP_2) | instskip(SKIP_1) | instid1(VALU_DEP_2)
	v_dual_mov_b32 v5, v10 :: v_dual_and_b32 v4, v9, v0
	v_lshrrev_b64 v[0:1], v26, v[9:10]
	v_cmp_eq_u64_e64 s0, v[4:5], v[27:28]
	s_delay_alu instid0(VALU_DEP_2) | instskip(NEXT) | instid1(VALU_DEP_2)
	v_dual_mov_b32 v5, v1 :: v_dual_mov_b32 v4, v0
	s_and_saveexec_b32 s10, s0
; %bb.92:                               ;   in Loop: Header=BB2_16 Depth=1
	v_bfe_u32 v4, v0, 20, 1
	s_delay_alu instid0(VALU_DEP_1) | instskip(NEXT) | instid1(VALU_DEP_1)
	v_add_co_u32 v4, s0, v0, v4
	v_add_co_u32 v4, s0, v4, -1
; %bb.93:                               ;   in Loop: Header=BB2_16 Depth=1
	s_or_b32 exec_lo, exec_lo, s10
	v_add_nc_u32_e32 v5, 0xffffff81, v16
	v_lshrrev_b32_e32 v9, 23, v0
	s_delay_alu instid0(VALU_DEP_3) | instskip(SKIP_1) | instid1(VALU_DEP_3)
	v_and_b32_e32 v4, 0xfffff, v4
	s_mov_b32 s0, exec_lo
	v_cndmask_b32_e64 v5, v5, 0xffffff82, vcc_lo
	s_delay_alu instid0(VALU_DEP_2) | instskip(SKIP_1) | instid1(VALU_DEP_3)
	v_add_co_u32 v0, vcc_lo, v4, v0
	v_add_co_ci_u32_e32 v1, vcc_lo, 0, v1, vcc_lo
	v_add3_u32 v5, v26, v5, v9
                                        ; implicit-def: $vgpr4
	s_delay_alu instid0(VALU_DEP_1) | instskip(NEXT) | instid1(VALU_DEP_1)
	v_add_nc_u32_e32 v9, 7, v5
	v_cmpx_ne_u32_e32 0, v9
	s_xor_b32 s0, exec_lo, s0
; %bb.94:                               ;   in Loop: Header=BB2_16 Depth=1
	v_cmp_lt_u64_e32 vcc_lo, 0xffffff, v[0:1]
	v_add_nc_u32_e32 v4, 8, v5
	v_cndmask_b32_e64 v5, 0, 1, vcc_lo
	s_delay_alu instid0(VALU_DEP_2) | instskip(NEXT) | instid1(VALU_DEP_2)
	v_cndmask_b32_e32 v4, v9, v4, vcc_lo
	v_lshrrev_b64 v[0:1], v5, v[0:1]
; %bb.95:                               ;   in Loop: Header=BB2_16 Depth=1
	s_and_not1_saveexec_b32 s0, s0
; %bb.96:                               ;   in Loop: Header=BB2_16 Depth=1
	s_delay_alu instid0(VALU_DEP_1)
	v_bfe_u32 v4, v0, 23, 1
; %bb.97:                               ;   in Loop: Header=BB2_16 Depth=1
	s_or_b32 exec_lo, exec_lo, s0
	s_delay_alu instid0(VALU_DEP_2) | instskip(NEXT) | instid1(VALU_DEP_2)
	v_lshrrev_b64 v[0:1], 20, v[0:1]
	v_cmp_gt_i32_e32 vcc_lo, 16, v4
	v_and_b32_e32 v2, 0x80, v2
	v_min_i32_e32 v5, 15, v4
	v_cmp_eq_u32_e64 s0, 0, v4
	v_dual_cndmask_b32 v1, 0, v1 :: v_dual_cndmask_b32 v0, 7, v0
	s_delay_alu instid0(VALU_DEP_3) | instskip(NEXT) | instid1(VALU_DEP_2)
	v_lshl_or_b32 v2, v5, 3, v2
	v_cmp_eq_u64_e32 vcc_lo, 0, v[0:1]
	s_delay_alu instid0(VALU_DEP_2)
	v_and_or_b32 v0, v0, 7, v2
	s_and_b32 s0, s0, vcc_lo
	s_delay_alu instid0(VALU_DEP_1) | instid1(SALU_CYCLE_1)
	v_cndmask_b32_e64 v4, v0, 0, s0
.LBB2_98:                               ;   in Loop: Header=BB2_16 Depth=1
	s_or_b32 exec_lo, exec_lo, s9
.LBB2_99:                               ;   in Loop: Header=BB2_16 Depth=1
	s_and_not1_saveexec_b32 s0, s8
	s_delay_alu instid0(SALU_CYCLE_1)
	s_or_b32 exec_lo, exec_lo, s0
.LBB2_100:                              ;   in Loop: Header=BB2_16 Depth=1
	s_and_not1_saveexec_b32 s0, s7
	s_delay_alu instid0(SALU_CYCLE_1) | instskip(SKIP_3) | instid1(VALU_DEP_1)
	s_or_b32 exec_lo, exec_lo, s0
	v_cvt_f32_f16_e32 v0, v7
	v_cvt_f32_f16_e32 v1, v3
	s_mov_b32 s0, exec_lo
	v_mul_f32_e32 v0, v0, v1
	s_delay_alu instid0(VALU_DEP_1) | instskip(NEXT) | instid1(VALU_DEP_1)
	v_mul_f32_e32 v1, v19, v0
	v_lshrrev_b32_e32 v5, 24, v1
	v_and_b32_e32 v9, 0x7f800000, v1
	s_delay_alu instid0(VALU_DEP_2) | instskip(NEXT) | instid1(VALU_DEP_2)
	v_or_b32_e32 v0, 0x7f, v5
	v_cmpx_ne_u64_e32 0x7f800000, v[9:10]
	s_xor_b32 s7, exec_lo, s0
	s_cbranch_execz .LBB2_15
; %bb.101:                              ;   in Loop: Header=BB2_16 Depth=1
	v_and_b32_e32 v9, 0x7fffffff, v1
	s_mov_b32 s0, exec_lo
	s_delay_alu instid0(VALU_DEP_1)
	v_cmpx_gt_u64_e32 0x43700001, v[9:10]
	s_xor_b32 s8, exec_lo, s0
	s_cbranch_execz .LBB2_14
; %bb.102:                              ;   in Loop: Header=BB2_16 Depth=1
	v_mov_b32_e32 v0, 0
	s_mov_b32 s9, exec_lo
	v_cmpx_ne_u32_e32 0, v1
	s_cbranch_execz .LBB2_13
; %bb.103:                              ;   in Loop: Header=BB2_16 Depth=1
	v_bfe_u32 v7, v1, 23, 8
	v_and_b32_e32 v2, 0x7fffff, v1
	s_delay_alu instid0(VALU_DEP_2) | instskip(SKIP_1) | instid1(VALU_DEP_3)
	v_sub_nc_u32_e32 v0, 0x78, v7
	v_cmp_gt_u32_e32 vcc_lo, 0x79, v7
	v_or_b32_e32 v3, 0x800000, v2
	s_delay_alu instid0(VALU_DEP_3) | instskip(SKIP_1) | instid1(VALU_DEP_3)
	v_cndmask_b32_e32 v0, 0, v0, vcc_lo
	v_cmp_eq_u32_e32 vcc_lo, 0, v7
	v_cndmask_b32_e32 v9, v3, v2, vcc_lo
	s_delay_alu instid0(VALU_DEP_3) | instskip(NEXT) | instid1(VALU_DEP_1)
	v_cndmask_b32_e64 v16, v0, 0x77, vcc_lo
	v_dual_mov_b32 v3, v10 :: v_dual_add_nc_u32 v0, 20, v16
	s_delay_alu instid0(VALU_DEP_1) | instskip(SKIP_1) | instid1(VALU_DEP_2)
	v_lshlrev_b64 v[0:1], v0, -1
	v_add_nc_u32_e32 v1, 19, v16
	v_not_b32_e32 v0, v0
	s_delay_alu instid0(VALU_DEP_2) | instskip(NEXT) | instid1(VALU_DEP_2)
	v_lshlrev_b64 v[26:27], v1, 1
	v_and_b32_e32 v2, v9, v0
	v_lshrrev_b64 v[0:1], v16, v[9:10]
	s_delay_alu instid0(VALU_DEP_2) | instskip(NEXT) | instid1(VALU_DEP_2)
	v_cmp_eq_u64_e64 s0, v[2:3], v[26:27]
	v_dual_mov_b32 v3, v1 :: v_dual_mov_b32 v2, v0
	s_delay_alu instid0(VALU_DEP_2)
	s_and_saveexec_b32 s10, s0
; %bb.104:                              ;   in Loop: Header=BB2_16 Depth=1
	v_bfe_u32 v2, v0, 20, 1
	s_delay_alu instid0(VALU_DEP_1) | instskip(NEXT) | instid1(VALU_DEP_1)
	v_add_co_u32 v2, s0, v0, v2
	v_add_co_u32 v2, s0, v2, -1
; %bb.105:                              ;   in Loop: Header=BB2_16 Depth=1
	s_or_b32 exec_lo, exec_lo, s10
	v_add_nc_u32_e32 v3, 0xffffff81, v7
	v_lshrrev_b32_e32 v7, 23, v0
	s_delay_alu instid0(VALU_DEP_3) | instskip(SKIP_1) | instid1(VALU_DEP_3)
	v_and_b32_e32 v2, 0xfffff, v2
	s_mov_b32 s0, exec_lo
	v_cndmask_b32_e64 v3, v3, 0xffffff82, vcc_lo
	s_delay_alu instid0(VALU_DEP_2) | instskip(SKIP_1) | instid1(VALU_DEP_3)
	v_add_co_u32 v0, vcc_lo, v2, v0
	v_add_co_ci_u32_e32 v1, vcc_lo, 0, v1, vcc_lo
	v_add3_u32 v3, v16, v3, v7
                                        ; implicit-def: $vgpr2
	s_delay_alu instid0(VALU_DEP_1) | instskip(NEXT) | instid1(VALU_DEP_1)
	v_add_nc_u32_e32 v7, 7, v3
	v_cmpx_ne_u32_e32 0, v7
	s_xor_b32 s0, exec_lo, s0
; %bb.106:                              ;   in Loop: Header=BB2_16 Depth=1
	v_cmp_lt_u64_e32 vcc_lo, 0xffffff, v[0:1]
	v_add_nc_u32_e32 v2, 8, v3
	v_cndmask_b32_e64 v3, 0, 1, vcc_lo
	s_delay_alu instid0(VALU_DEP_2) | instskip(NEXT) | instid1(VALU_DEP_2)
	v_cndmask_b32_e32 v2, v7, v2, vcc_lo
	v_lshrrev_b64 v[0:1], v3, v[0:1]
; %bb.107:                              ;   in Loop: Header=BB2_16 Depth=1
	s_and_not1_saveexec_b32 s0, s0
	s_cbranch_execz .LBB2_12
; %bb.108:                              ;   in Loop: Header=BB2_16 Depth=1
	s_delay_alu instid0(VALU_DEP_1)
	v_bfe_u32 v2, v0, 23, 1
	s_branch .LBB2_12
.LBB2_109:
	s_or_b32 exec_lo, exec_lo, s1
	s_delay_alu instid0(SALU_CYCLE_1)
	s_mov_b32 s0, exec_lo
	v_cmpx_gt_i32_e64 s18, v8
	s_cbranch_execz .LBB2_112
; %bb.110:
	v_mov_b32_e32 v0, 0
	s_mul_i32 s0, s15, s18
	s_mov_b32 s1, 0
	s_delay_alu instid0(SALU_CYCLE_1) | instskip(NEXT) | instid1(VALU_DEP_1)
	s_lshl_b64 s[2:3], s[0:1], 1
	v_mov_b32_e32 v1, v0
	v_mov_b32_e32 v2, v0
	;; [unrolled: 1-line block ×3, first 2 shown]
	s_add_u32 s2, s12, s2
	s_addc_u32 s3, s13, s3
.LBB2_111:                              ; =>This Inner Loop Header: Depth=1
	v_ashrrev_i32_e32 v9, 31, v8
	s_delay_alu instid0(VALU_DEP_1) | instskip(SKIP_1) | instid1(VALU_DEP_1)
	v_lshlrev_b64 v[4:5], 1, v[8:9]
	v_add_nc_u32_e32 v8, s14, v8
	v_cmp_le_i32_e32 vcc_lo, s18, v8
	s_delay_alu instid0(VALU_DEP_3) | instskip(NEXT) | instid1(VALU_DEP_1)
	v_add_co_u32 v4, s0, s2, v4
	v_add_co_ci_u32_e64 v5, s0, s3, v5, s0
	s_or_b32 s1, vcc_lo, s1
	global_store_b128 v[4:5], v[0:3], off
	s_and_not1_b32 exec_lo, exec_lo, s1
	s_cbranch_execnz .LBB2_111
.LBB2_112:
	s_nop 0
	s_sendmsg sendmsg(MSG_DEALLOC_VGPRS)
	s_endpgm
	.section	.rodata,"a",@progbits
	.p2align	6, 0x0
	.amdhsa_kernel _Z24_residual_rms_vectorizedItLb1EEvPK6__halfPS0_S2_PKfPT_S3_fii
		.amdhsa_group_segment_fixed_size 32900
		.amdhsa_private_segment_fixed_size 0
		.amdhsa_kernarg_size 320
		.amdhsa_user_sgpr_count 15
		.amdhsa_user_sgpr_dispatch_ptr 0
		.amdhsa_user_sgpr_queue_ptr 0
		.amdhsa_user_sgpr_kernarg_segment_ptr 1
		.amdhsa_user_sgpr_dispatch_id 0
		.amdhsa_user_sgpr_private_segment_size 0
		.amdhsa_wavefront_size32 1
		.amdhsa_uses_dynamic_stack 0
		.amdhsa_enable_private_segment 0
		.amdhsa_system_sgpr_workgroup_id_x 1
		.amdhsa_system_sgpr_workgroup_id_y 0
		.amdhsa_system_sgpr_workgroup_id_z 0
		.amdhsa_system_sgpr_workgroup_info 0
		.amdhsa_system_vgpr_workitem_id 0
		.amdhsa_next_free_vgpr 30
		.amdhsa_next_free_sgpr 25
		.amdhsa_reserve_vcc 1
		.amdhsa_float_round_mode_32 0
		.amdhsa_float_round_mode_16_64 0
		.amdhsa_float_denorm_mode_32 3
		.amdhsa_float_denorm_mode_16_64 3
		.amdhsa_dx10_clamp 1
		.amdhsa_ieee_mode 1
		.amdhsa_fp16_overflow 0
		.amdhsa_workgroup_processor_mode 1
		.amdhsa_memory_ordered 1
		.amdhsa_forward_progress 0
		.amdhsa_shared_vgpr_count 0
		.amdhsa_exception_fp_ieee_invalid_op 0
		.amdhsa_exception_fp_denorm_src 0
		.amdhsa_exception_fp_ieee_div_zero 0
		.amdhsa_exception_fp_ieee_overflow 0
		.amdhsa_exception_fp_ieee_underflow 0
		.amdhsa_exception_fp_ieee_inexact 0
		.amdhsa_exception_int_div_zero 0
	.end_amdhsa_kernel
	.section	.text._Z24_residual_rms_vectorizedItLb1EEvPK6__halfPS0_S2_PKfPT_S3_fii,"axG",@progbits,_Z24_residual_rms_vectorizedItLb1EEvPK6__halfPS0_S2_PKfPT_S3_fii,comdat
.Lfunc_end2:
	.size	_Z24_residual_rms_vectorizedItLb1EEvPK6__halfPS0_S2_PKfPT_S3_fii, .Lfunc_end2-_Z24_residual_rms_vectorizedItLb1EEvPK6__halfPS0_S2_PKfPT_S3_fii
                                        ; -- End function
	.section	.AMDGPU.csdata,"",@progbits
; Kernel info:
; codeLenInByte = 6308
; NumSgprs: 27
; NumVgprs: 30
; ScratchSize: 0
; MemoryBound: 0
; FloatMode: 240
; IeeeMode: 1
; LDSByteSize: 32900 bytes/workgroup (compile time only)
; SGPRBlocks: 3
; VGPRBlocks: 3
; NumSGPRsForWavesPerEU: 27
; NumVGPRsForWavesPerEU: 30
; Occupancy: 16
; WaveLimiterHint : 0
; COMPUTE_PGM_RSRC2:SCRATCH_EN: 0
; COMPUTE_PGM_RSRC2:USER_SGPR: 15
; COMPUTE_PGM_RSRC2:TRAP_HANDLER: 0
; COMPUTE_PGM_RSRC2:TGID_X_EN: 1
; COMPUTE_PGM_RSRC2:TGID_Y_EN: 0
; COMPUTE_PGM_RSRC2:TGID_Z_EN: 0
; COMPUTE_PGM_RSRC2:TIDIG_COMP_CNT: 0
	.section	.text._Z20_residual_rms_scalarIhLb1EEvPK6__halfPS0_S2_PKfPT_S3_fii,"axG",@progbits,_Z20_residual_rms_scalarIhLb1EEvPK6__halfPS0_S2_PKfPT_S3_fii,comdat
	.protected	_Z20_residual_rms_scalarIhLb1EEvPK6__halfPS0_S2_PKfPT_S3_fii ; -- Begin function _Z20_residual_rms_scalarIhLb1EEvPK6__halfPS0_S2_PKfPT_S3_fii
	.globl	_Z20_residual_rms_scalarIhLb1EEvPK6__halfPS0_S2_PKfPT_S3_fii
	.p2align	8
	.type	_Z20_residual_rms_scalarIhLb1EEvPK6__halfPS0_S2_PKfPT_S3_fii,@function
_Z20_residual_rms_scalarIhLb1EEvPK6__halfPS0_S2_PKfPT_S3_fii: ; @_Z20_residual_rms_scalarIhLb1EEvPK6__halfPS0_S2_PKfPT_S3_fii
; %bb.0:
	s_clause 0x1
	s_load_b128 s[16:19], s[0:1], 0x30
	s_load_b64 s[4:5], s[0:1], 0x8
	s_mov_b32 s13, 0
                                        ; implicit-def: $sgpr24
	s_waitcnt lgkmcnt(0)
	s_mul_i32 s12, s15, s17
	v_cmp_gt_i32_e64 s2, s17, v0
	s_lshl_b64 s[20:21], s[12:13], 1
	s_delay_alu instid0(SALU_CYCLE_1)
	s_add_u32 s3, s4, s20
	s_addc_u32 s14, s5, s21
	s_add_u32 s22, s0, 64
	s_addc_u32 s23, s1, 0
	s_mov_b32 s4, exec_lo
	v_cmpx_le_i32_e64 s17, v0
	s_xor_b32 s4, exec_lo, s4
	s_cbranch_execz .LBB3_2
; %bb.1:
	s_load_b32 s5, s[22:23], 0xc
	s_waitcnt lgkmcnt(0)
	s_and_b32 s24, s5, 0xffff
.LBB3_2:
	s_or_saveexec_b32 s19, s4
	s_load_b256 s[4:11], s[0:1], 0x10
	v_mov_b32_e32 v3, s13
	v_mov_b32_e32 v9, s24
	s_xor_b32 exec_lo, exec_lo, s19
	s_cbranch_execz .LBB3_6
; %bb.3:
	s_load_b64 s[24:25], s[0:1], 0x0
	s_load_b32 s0, s[22:23], 0xc
	v_mov_b32_e32 v3, 0
	v_mov_b32_e32 v1, v0
	s_waitcnt lgkmcnt(0)
	s_add_u32 s1, s24, s20
	s_addc_u32 s13, s25, s21
	s_and_b32 s0, s0, 0xffff
	s_mov_b32 s20, 0
	.p2align	6
.LBB3_4:                                ; =>This Inner Loop Header: Depth=1
	v_ashrrev_i32_e32 v2, 31, v1
	s_delay_alu instid0(VALU_DEP_1) | instskip(SKIP_1) | instid1(VALU_DEP_2)
	v_lshlrev_b64 v[4:5], 1, v[1:2]
	v_add_nc_u32_e32 v1, s0, v1
	v_add_co_u32 v6, vcc_lo, s1, v4
	s_delay_alu instid0(VALU_DEP_3)
	v_add_co_ci_u32_e32 v7, vcc_lo, s13, v5, vcc_lo
	v_add_co_u32 v4, vcc_lo, s3, v4
	v_add_co_ci_u32_e32 v5, vcc_lo, s14, v5, vcc_lo
	v_cmp_le_i32_e32 vcc_lo, s17, v1
	global_load_u16 v2, v[6:7], off
	global_load_u16 v6, v[4:5], off
	s_or_b32 s20, vcc_lo, s20
	s_waitcnt vmcnt(0)
	v_add_f16_e32 v2, v2, v6
	s_delay_alu instid0(VALU_DEP_1)
	v_fma_mix_f32 v3, v2, v2, v3 op_sel_hi:[1,1,0]
	global_store_b16 v[4:5], v2, off
	s_and_not1_b32 exec_lo, exec_lo, s20
	s_cbranch_execnz .LBB3_4
; %bb.5:
	s_or_b32 exec_lo, exec_lo, s20
	v_mov_b32_e32 v9, s0
.LBB3_6:
	s_or_b32 exec_lo, exec_lo, s19
	v_cvt_f32_i32_e32 v4, s17
	s_delay_alu instid0(VALU_DEP_1) | instskip(SKIP_1) | instid1(VALU_DEP_2)
	v_div_scale_f32 v2, null, v4, v4, v3
	v_div_scale_f32 v6, vcc_lo, v3, v4, v3
	v_rcp_f32_e32 v5, v2
	s_waitcnt_depctr 0xfff
	v_fma_f32 v1, -v2, v5, 1.0
	s_delay_alu instid0(VALU_DEP_1) | instskip(NEXT) | instid1(VALU_DEP_1)
	v_fmac_f32_e32 v5, v1, v5
	v_mul_f32_e32 v7, v6, v5
	s_delay_alu instid0(VALU_DEP_1) | instskip(NEXT) | instid1(VALU_DEP_1)
	v_fma_f32 v1, -v2, v7, v6
	v_fmac_f32_e32 v7, v1, v5
	v_mbcnt_lo_u32_b32 v1, -1, 0
	s_delay_alu instid0(VALU_DEP_2) | instskip(NEXT) | instid1(VALU_DEP_2)
	v_fma_f32 v2, -v2, v7, v6
	v_cmp_ne_u32_e64 s0, 31, v1
	s_delay_alu instid0(VALU_DEP_2) | instskip(NEXT) | instid1(VALU_DEP_2)
	v_div_fmas_f32 v5, v2, v5, v7
	v_add_co_ci_u32_e64 v6, s0, 0, v1, s0
	v_cmp_gt_u32_e32 vcc_lo, 30, v1
	s_mov_b32 s0, exec_lo
	s_delay_alu instid0(VALU_DEP_3) | instskip(NEXT) | instid1(VALU_DEP_3)
	v_div_fixup_f32 v5, v5, v4, v3
	v_lshlrev_b32_e32 v2, 2, v6
	v_and_b32_e32 v3, 0x3e0, v0
	v_cndmask_b32_e64 v6, 0, 1, vcc_lo
	ds_bpermute_b32 v4, v2, v5
	v_sub_nc_u32_e64 v13, v9, v3 clamp
	v_add_nc_u32_e32 v3, 1, v1
	v_lshlrev_b32_e32 v6, 1, v6
	s_delay_alu instid0(VALU_DEP_2) | instskip(SKIP_2) | instid1(VALU_DEP_3)
	v_cmp_lt_u32_e32 vcc_lo, v3, v13
	s_waitcnt lgkmcnt(0)
	v_add_f32_e32 v7, v5, v4
	v_add_lshl_u32 v4, v6, v1, 2
	s_delay_alu instid0(VALU_DEP_2) | instskip(SKIP_3) | instid1(VALU_DEP_1)
	v_cndmask_b32_e32 v7, v5, v7, vcc_lo
	v_cmp_gt_u32_e32 vcc_lo, 28, v1
	ds_bpermute_b32 v6, v4, v7
	v_cndmask_b32_e64 v5, 0, 1, vcc_lo
	v_lshlrev_b32_e32 v8, 2, v5
	v_add_nc_u32_e32 v5, 2, v1
	s_delay_alu instid0(VALU_DEP_1) | instskip(SKIP_3) | instid1(VALU_DEP_2)
	v_cmp_lt_u32_e32 vcc_lo, v5, v13
	s_waitcnt lgkmcnt(0)
	v_add_f32_e32 v10, v7, v6
	v_add_lshl_u32 v6, v8, v1, 2
	v_cndmask_b32_e32 v10, v7, v10, vcc_lo
	v_cmp_gt_u32_e32 vcc_lo, 24, v1
	ds_bpermute_b32 v8, v6, v10
	v_cndmask_b32_e64 v7, 0, 1, vcc_lo
	s_delay_alu instid0(VALU_DEP_1) | instskip(SKIP_1) | instid1(VALU_DEP_1)
	v_lshlrev_b32_e32 v11, 3, v7
	v_add_nc_u32_e32 v7, 4, v1
	v_cmp_lt_u32_e32 vcc_lo, v7, v13
	s_waitcnt lgkmcnt(0)
	v_add_f32_e32 v12, v10, v8
	v_add_lshl_u32 v8, v11, v1, 2
	s_delay_alu instid0(VALU_DEP_2) | instskip(SKIP_3) | instid1(VALU_DEP_1)
	v_cndmask_b32_e32 v12, v10, v12, vcc_lo
	v_cmp_gt_u32_e32 vcc_lo, 16, v1
	ds_bpermute_b32 v11, v8, v12
	v_cndmask_b32_e64 v10, 0, 1, vcc_lo
	v_lshlrev_b32_e32 v14, 4, v10
	v_add_nc_u32_e32 v10, 8, v1
	s_delay_alu instid0(VALU_DEP_1) | instskip(SKIP_3) | instid1(VALU_DEP_2)
	v_cmp_lt_u32_e32 vcc_lo, v10, v13
	s_waitcnt lgkmcnt(0)
	v_add_f32_e32 v15, v12, v11
	v_add_lshl_u32 v11, v14, v1, 2
	v_cndmask_b32_e32 v14, v12, v15, vcc_lo
	ds_bpermute_b32 v15, v11, v14
	s_waitcnt lgkmcnt(0)
	v_dual_add_f32 v15, v14, v15 :: v_dual_add_nc_u32 v12, 16, v1
	s_delay_alu instid0(VALU_DEP_1) | instskip(NEXT) | instid1(VALU_DEP_2)
	v_cmp_lt_u32_e32 vcc_lo, v12, v13
	v_cndmask_b32_e32 v13, v14, v15, vcc_lo
	v_cmpx_eq_u32_e32 0, v1
	s_cbranch_execz .LBB3_8
; %bb.7:
	v_lshrrev_b32_e32 v14, 3, v0
	s_delay_alu instid0(VALU_DEP_1)
	v_and_b32_e32 v14, 0x7c, v14
	ds_store_b32 v14, v13
.LBB3_8:
	s_or_b32 exec_lo, exec_lo, s0
	s_delay_alu instid0(SALU_CYCLE_1)
	s_mov_b32 s0, exec_lo
	s_waitcnt lgkmcnt(0)
	s_waitcnt_vscnt null, 0x0
	s_barrier
	buffer_gl0_inv
	v_cmpx_gt_u32_e32 32, v0
	s_cbranch_execz .LBB3_10
; %bb.9:
	v_lshlrev_b32_e32 v1, 2, v1
	ds_load_b32 v1, v1
	s_waitcnt lgkmcnt(0)
	ds_bpermute_b32 v2, v2, v1
	s_waitcnt lgkmcnt(0)
	v_dual_add_f32 v2, v1, v2 :: v_dual_add_nc_u32 v13, 31, v9
	s_delay_alu instid0(VALU_DEP_1) | instskip(NEXT) | instid1(VALU_DEP_1)
	v_lshrrev_b32_e32 v13, 5, v13
	v_cmp_lt_u32_e32 vcc_lo, v3, v13
	s_delay_alu instid0(VALU_DEP_3) | instskip(SKIP_4) | instid1(VALU_DEP_1)
	v_cndmask_b32_e32 v1, v1, v2, vcc_lo
	v_cmp_lt_u32_e32 vcc_lo, v5, v13
	ds_bpermute_b32 v2, v4, v1
	s_waitcnt lgkmcnt(0)
	v_add_f32_e32 v2, v1, v2
	v_cndmask_b32_e32 v1, v1, v2, vcc_lo
	v_cmp_lt_u32_e32 vcc_lo, v7, v13
	ds_bpermute_b32 v2, v6, v1
	s_waitcnt lgkmcnt(0)
	v_add_f32_e32 v2, v1, v2
	s_delay_alu instid0(VALU_DEP_1) | instskip(SKIP_4) | instid1(VALU_DEP_1)
	v_cndmask_b32_e32 v1, v1, v2, vcc_lo
	v_cmp_lt_u32_e32 vcc_lo, v10, v13
	ds_bpermute_b32 v2, v8, v1
	s_waitcnt lgkmcnt(0)
	v_add_f32_e32 v2, v1, v2
	v_cndmask_b32_e32 v1, v1, v2, vcc_lo
	v_cmp_lt_u32_e32 vcc_lo, v12, v13
	ds_bpermute_b32 v2, v11, v1
	s_waitcnt lgkmcnt(0)
	v_add_f32_e32 v2, v1, v2
	s_delay_alu instid0(VALU_DEP_1)
	v_cndmask_b32_e32 v13, v1, v2, vcc_lo
.LBB3_10:
	s_or_b32 exec_lo, exec_lo, s0
	s_delay_alu instid0(SALU_CYCLE_1)
	s_mov_b32 s0, exec_lo
	v_cmpx_eq_u32_e32 0, v0
	s_cbranch_execz .LBB3_12
; %bb.11:
	v_add_f32_e32 v1, s16, v13
	s_delay_alu instid0(VALU_DEP_1) | instskip(SKIP_1) | instid1(VALU_DEP_2)
	v_mul_f32_e32 v2, 0x4b800000, v1
	v_cmp_gt_f32_e32 vcc_lo, 0x800000, v1
	v_cndmask_b32_e32 v1, v1, v2, vcc_lo
	s_delay_alu instid0(VALU_DEP_1) | instskip(SKIP_2) | instid1(VALU_DEP_1)
	v_rsq_f32_e32 v1, v1
	s_waitcnt_depctr 0xfff
	v_mul_f32_e32 v2, 0x45800000, v1
	v_dual_cndmask_b32 v1, v1, v2 :: v_dual_mov_b32 v2, 0
	ds_store_b32 v2, v1 offset:128
.LBB3_12:
	s_or_b32 exec_lo, exec_lo, s0
	s_waitcnt lgkmcnt(0)
	s_barrier
	buffer_gl0_inv
	s_and_saveexec_b32 s1, s2
	s_cbranch_execz .LBB3_27
; %bb.13:
	s_load_b32 s0, s[6:7], 0x0
	s_add_u32 s2, s8, s12
	s_addc_u32 s6, s9, 0
	s_mov_b32 s7, 0
	s_waitcnt lgkmcnt(0)
	v_div_scale_f32 v1, null, s0, s0, 1.0
	v_div_scale_f32 v4, vcc_lo, 1.0, s0, 1.0
	s_delay_alu instid0(VALU_DEP_2) | instskip(SKIP_2) | instid1(VALU_DEP_1)
	v_rcp_f32_e32 v3, v1
	s_waitcnt_depctr 0xfff
	v_fma_f32 v2, -v1, v3, 1.0
	v_dual_fmac_f32 v3, v2, v3 :: v_dual_mov_b32 v2, 0
	s_delay_alu instid0(VALU_DEP_1) | instskip(SKIP_2) | instid1(VALU_DEP_1)
	v_mul_f32_e32 v5, v4, v3
	ds_load_b32 v10, v2 offset:128
	v_fma_f32 v6, -v1, v5, v4
	v_fmac_f32_e32 v5, v6, v3
	s_delay_alu instid0(VALU_DEP_1) | instskip(NEXT) | instid1(VALU_DEP_1)
	v_fma_f32 v1, -v1, v5, v4
	v_div_fmas_f32 v1, v1, v3, v5
	v_mov_b32_e32 v3, v0
	s_delay_alu instid0(VALU_DEP_2)
	v_div_fixup_f32 v11, v1, s0, 1.0
	s_branch .LBB3_18
.LBB3_14:                               ;   in Loop: Header=BB3_18 Depth=1
	s_or_b32 exec_lo, exec_lo, s0
	s_delay_alu instid0(VALU_DEP_1) | instskip(NEXT) | instid1(VALU_DEP_2)
	v_lshrrev_b64 v[5:6], 20, v[5:6]
	v_cmp_gt_i32_e32 vcc_lo, 16, v1
	v_and_b32_e32 v7, 0x80, v12
	v_min_i32_e32 v8, 15, v1
	v_cmp_eq_u32_e64 s0, 0, v1
	v_dual_cndmask_b32 v6, 0, v6 :: v_dual_cndmask_b32 v5, 7, v5
	s_delay_alu instid0(VALU_DEP_3) | instskip(NEXT) | instid1(VALU_DEP_2)
	v_lshl_or_b32 v7, v8, 3, v7
	v_cmp_eq_u64_e32 vcc_lo, 0, v[5:6]
	s_delay_alu instid0(VALU_DEP_2)
	v_and_or_b32 v1, v5, 7, v7
	s_and_b32 s0, s0, vcc_lo
	s_delay_alu instid0(VALU_DEP_1) | instid1(SALU_CYCLE_1)
	v_cndmask_b32_e64 v5, v1, 0, s0
.LBB3_15:                               ;   in Loop: Header=BB3_18 Depth=1
	s_or_b32 exec_lo, exec_lo, s12
.LBB3_16:                               ;   in Loop: Header=BB3_18 Depth=1
	s_and_not1_saveexec_b32 s0, s9
	s_delay_alu instid0(SALU_CYCLE_1)
	s_or_b32 exec_lo, exec_lo, s0
.LBB3_17:                               ;   in Loop: Header=BB3_18 Depth=1
	s_and_not1_saveexec_b32 s0, s8
	s_delay_alu instid0(SALU_CYCLE_1) | instskip(SKIP_3) | instid1(VALU_DEP_2)
	s_or_b32 exec_lo, exec_lo, s0
	v_add_co_u32 v6, vcc_lo, s2, v3
	v_add_nc_u32_e32 v3, v3, v9
	v_add_co_ci_u32_e32 v7, vcc_lo, s6, v4, vcc_lo
	v_cmp_le_i32_e32 vcc_lo, s17, v3
	global_store_b8 v[6:7], v5, off
	s_or_b32 s7, vcc_lo, s7
	s_delay_alu instid0(SALU_CYCLE_1)
	s_and_not1_b32 exec_lo, exec_lo, s7
	s_cbranch_execz .LBB3_27
.LBB3_18:                               ; =>This Inner Loop Header: Depth=1
	s_delay_alu instid0(VALU_DEP_2) | instskip(SKIP_1) | instid1(VALU_DEP_1)
	v_ashrrev_i32_e32 v4, 31, v3
	s_mov_b32 s0, exec_lo
	v_lshlrev_b64 v[5:6], 1, v[3:4]
	s_delay_alu instid0(VALU_DEP_1) | instskip(NEXT) | instid1(VALU_DEP_2)
	v_add_co_u32 v7, vcc_lo, s3, v5
	v_add_co_ci_u32_e32 v8, vcc_lo, s14, v6, vcc_lo
	v_add_co_u32 v5, vcc_lo, s4, v5
	v_add_co_ci_u32_e32 v6, vcc_lo, s5, v6, vcc_lo
	global_load_u16 v1, v[7:8], off
	global_load_u16 v5, v[5:6], off
	s_waitcnt vmcnt(1) lgkmcnt(0)
	v_fma_mixlo_f16 v1, v10, v1, 0 op_sel_hi:[0,1,0]
	s_waitcnt vmcnt(0)
	s_delay_alu instid0(VALU_DEP_1) | instskip(NEXT) | instid1(VALU_DEP_1)
	v_mul_f16_e32 v1, v5, v1
	v_cvt_f32_f16_e32 v1, v1
	s_delay_alu instid0(VALU_DEP_1) | instskip(NEXT) | instid1(VALU_DEP_1)
	v_mul_f32_e32 v1, v11, v1
	v_cmp_nlt_f32_e32 vcc_lo, 0x43e00000, v1
	v_cndmask_b32_e32 v1, 0x43e00000, v1, vcc_lo
	s_delay_alu instid0(VALU_DEP_1) | instskip(SKIP_1) | instid1(VALU_DEP_1)
	v_cmp_ngt_f32_e32 vcc_lo, 0xc3e00000, v1
	v_cndmask_b32_e32 v6, 0xc3e00000, v1, vcc_lo
	v_lshrrev_b32_e32 v12, 24, v6
	v_and_b32_e32 v1, 0x7f800000, v6
	s_delay_alu instid0(VALU_DEP_2) | instskip(NEXT) | instid1(VALU_DEP_2)
	v_or_b32_e32 v5, 0x7f, v12
	v_cmpx_ne_u64_e32 0x7f800000, v[1:2]
	s_xor_b32 s8, exec_lo, s0
	s_cbranch_execz .LBB3_17
; %bb.19:                               ;   in Loop: Header=BB3_18 Depth=1
	v_and_b32_e32 v1, 0x7fffffff, v6
	s_mov_b32 s0, exec_lo
	s_delay_alu instid0(VALU_DEP_1)
	v_cmpx_gt_u64_e32 0x43700001, v[1:2]
	s_xor_b32 s9, exec_lo, s0
	s_cbranch_execz .LBB3_16
; %bb.20:                               ;   in Loop: Header=BB3_18 Depth=1
	v_mov_b32_e32 v5, 0
	s_mov_b32 s12, exec_lo
	v_cmpx_ne_u32_e32 0, v6
	s_cbranch_execz .LBB3_15
; %bb.21:                               ;   in Loop: Header=BB3_18 Depth=1
	v_bfe_u32 v13, v6, 23, 8
	v_mov_b32_e32 v8, v2
	s_delay_alu instid0(VALU_DEP_2) | instskip(SKIP_1) | instid1(VALU_DEP_2)
	v_sub_nc_u32_e32 v1, 0x78, v13
	v_cmp_gt_u32_e32 vcc_lo, 0x79, v13
	v_cndmask_b32_e32 v1, 0, v1, vcc_lo
	v_cmp_eq_u32_e32 vcc_lo, 0, v13
	s_delay_alu instid0(VALU_DEP_2) | instskip(SKIP_1) | instid1(VALU_DEP_2)
	v_cndmask_b32_e64 v14, v1, 0x77, vcc_lo
	v_and_b32_e32 v1, 0x7fffff, v6
	v_add_nc_u32_e32 v5, 20, v14
	s_delay_alu instid0(VALU_DEP_2) | instskip(NEXT) | instid1(VALU_DEP_2)
	v_or_b32_e32 v7, 0x800000, v1
	v_lshlrev_b64 v[5:6], v5, -1
	s_delay_alu instid0(VALU_DEP_2) | instskip(NEXT) | instid1(VALU_DEP_2)
	v_dual_cndmask_b32 v1, v7, v1 :: v_dual_add_nc_u32 v6, 19, v14
	v_not_b32_e32 v5, v5
	s_delay_alu instid0(VALU_DEP_2) | instskip(NEXT) | instid1(VALU_DEP_2)
	v_lshlrev_b64 v[15:16], v6, 1
	v_and_b32_e32 v7, v1, v5
	v_lshrrev_b64 v[5:6], v14, v[1:2]
	s_delay_alu instid0(VALU_DEP_2) | instskip(NEXT) | instid1(VALU_DEP_2)
	v_cmp_eq_u64_e64 s0, v[7:8], v[15:16]
	v_dual_mov_b32 v8, v6 :: v_dual_mov_b32 v7, v5
	s_delay_alu instid0(VALU_DEP_2)
	s_and_saveexec_b32 s13, s0
; %bb.22:                               ;   in Loop: Header=BB3_18 Depth=1
	v_bfe_u32 v1, v5, 20, 1
	s_delay_alu instid0(VALU_DEP_1) | instskip(NEXT) | instid1(VALU_DEP_1)
	v_add_co_u32 v1, s0, v5, v1
	v_add_co_u32 v7, s0, v1, -1
; %bb.23:                               ;   in Loop: Header=BB3_18 Depth=1
	s_or_b32 exec_lo, exec_lo, s13
	v_add_nc_u32_e32 v1, 0xffffff81, v13
	v_lshrrev_b32_e32 v8, 23, v5
	s_mov_b32 s0, exec_lo
	s_delay_alu instid0(VALU_DEP_2) | instskip(NEXT) | instid1(VALU_DEP_1)
	v_cndmask_b32_e64 v1, v1, 0xffffff82, vcc_lo
	v_add3_u32 v8, v14, v1, v8
	v_and_b32_e32 v1, 0xfffff, v7
	s_delay_alu instid0(VALU_DEP_2) | instskip(NEXT) | instid1(VALU_DEP_2)
	v_add_nc_u32_e32 v7, 7, v8
	v_add_co_u32 v5, vcc_lo, v1, v5
	v_add_co_ci_u32_e32 v6, vcc_lo, 0, v6, vcc_lo
                                        ; implicit-def: $vgpr1
	s_delay_alu instid0(VALU_DEP_3)
	v_cmpx_ne_u32_e32 0, v7
	s_xor_b32 s0, exec_lo, s0
; %bb.24:                               ;   in Loop: Header=BB3_18 Depth=1
	s_delay_alu instid0(VALU_DEP_2) | instskip(SKIP_1) | instid1(VALU_DEP_1)
	v_cmp_lt_u64_e32 vcc_lo, 0xffffff, v[5:6]
	v_add_nc_u32_e32 v1, 8, v8
	v_cndmask_b32_e32 v1, v7, v1, vcc_lo
	v_cndmask_b32_e64 v7, 0, 1, vcc_lo
	s_delay_alu instid0(VALU_DEP_1)
	v_lshrrev_b64 v[5:6], v7, v[5:6]
; %bb.25:                               ;   in Loop: Header=BB3_18 Depth=1
	s_and_not1_saveexec_b32 s0, s0
	s_cbranch_execz .LBB3_14
; %bb.26:                               ;   in Loop: Header=BB3_18 Depth=1
	s_delay_alu instid0(VALU_DEP_1)
	v_bfe_u32 v1, v5, 23, 1
	s_branch .LBB3_14
.LBB3_27:
	s_or_b32 exec_lo, exec_lo, s1
	s_delay_alu instid0(SALU_CYCLE_1)
	s_mov_b32 s0, exec_lo
	v_cmpx_gt_i32_e64 s18, v0
	s_cbranch_execz .LBB3_30
; %bb.28:
	s_mul_i32 s0, s15, s18
	s_mov_b32 s1, 0
	v_mov_b32_e32 v2, 0
	s_lshl_b64 s[2:3], s[0:1], 1
	s_delay_alu instid0(SALU_CYCLE_1)
	s_add_u32 s2, s10, s2
	s_addc_u32 s3, s11, s3
.LBB3_29:                               ; =>This Inner Loop Header: Depth=1
	v_ashrrev_i32_e32 v1, 31, v0
	s_delay_alu instid0(VALU_DEP_1) | instskip(SKIP_1) | instid1(VALU_DEP_1)
	v_lshlrev_b64 v[3:4], 1, v[0:1]
	v_add_nc_u32_e32 v0, v0, v9
	v_cmp_le_i32_e32 vcc_lo, s18, v0
	s_delay_alu instid0(VALU_DEP_3) | instskip(NEXT) | instid1(VALU_DEP_1)
	v_add_co_u32 v3, s0, s2, v3
	v_add_co_ci_u32_e64 v4, s0, s3, v4, s0
	s_or_b32 s1, vcc_lo, s1
	global_store_b16 v[3:4], v2, off
	s_and_not1_b32 exec_lo, exec_lo, s1
	s_cbranch_execnz .LBB3_29
.LBB3_30:
	s_nop 0
	s_sendmsg sendmsg(MSG_DEALLOC_VGPRS)
	s_endpgm
	.section	.rodata,"a",@progbits
	.p2align	6, 0x0
	.amdhsa_kernel _Z20_residual_rms_scalarIhLb1EEvPK6__halfPS0_S2_PKfPT_S3_fii
		.amdhsa_group_segment_fixed_size 132
		.amdhsa_private_segment_fixed_size 0
		.amdhsa_kernarg_size 320
		.amdhsa_user_sgpr_count 15
		.amdhsa_user_sgpr_dispatch_ptr 0
		.amdhsa_user_sgpr_queue_ptr 0
		.amdhsa_user_sgpr_kernarg_segment_ptr 1
		.amdhsa_user_sgpr_dispatch_id 0
		.amdhsa_user_sgpr_private_segment_size 0
		.amdhsa_wavefront_size32 1
		.amdhsa_uses_dynamic_stack 0
		.amdhsa_enable_private_segment 0
		.amdhsa_system_sgpr_workgroup_id_x 1
		.amdhsa_system_sgpr_workgroup_id_y 0
		.amdhsa_system_sgpr_workgroup_id_z 0
		.amdhsa_system_sgpr_workgroup_info 0
		.amdhsa_system_vgpr_workitem_id 0
		.amdhsa_next_free_vgpr 17
		.amdhsa_next_free_sgpr 26
		.amdhsa_reserve_vcc 1
		.amdhsa_float_round_mode_32 0
		.amdhsa_float_round_mode_16_64 0
		.amdhsa_float_denorm_mode_32 3
		.amdhsa_float_denorm_mode_16_64 3
		.amdhsa_dx10_clamp 1
		.amdhsa_ieee_mode 1
		.amdhsa_fp16_overflow 0
		.amdhsa_workgroup_processor_mode 1
		.amdhsa_memory_ordered 1
		.amdhsa_forward_progress 0
		.amdhsa_shared_vgpr_count 0
		.amdhsa_exception_fp_ieee_invalid_op 0
		.amdhsa_exception_fp_denorm_src 0
		.amdhsa_exception_fp_ieee_div_zero 0
		.amdhsa_exception_fp_ieee_overflow 0
		.amdhsa_exception_fp_ieee_underflow 0
		.amdhsa_exception_fp_ieee_inexact 0
		.amdhsa_exception_int_div_zero 0
	.end_amdhsa_kernel
	.section	.text._Z20_residual_rms_scalarIhLb1EEvPK6__halfPS0_S2_PKfPT_S3_fii,"axG",@progbits,_Z20_residual_rms_scalarIhLb1EEvPK6__halfPS0_S2_PKfPT_S3_fii,comdat
.Lfunc_end3:
	.size	_Z20_residual_rms_scalarIhLb1EEvPK6__halfPS0_S2_PKfPT_S3_fii, .Lfunc_end3-_Z20_residual_rms_scalarIhLb1EEvPK6__halfPS0_S2_PKfPT_S3_fii
                                        ; -- End function
	.section	.AMDGPU.csdata,"",@progbits
; Kernel info:
; codeLenInByte = 2044
; NumSgprs: 28
; NumVgprs: 17
; ScratchSize: 0
; MemoryBound: 0
; FloatMode: 240
; IeeeMode: 1
; LDSByteSize: 132 bytes/workgroup (compile time only)
; SGPRBlocks: 3
; VGPRBlocks: 2
; NumSGPRsForWavesPerEU: 28
; NumVGPRsForWavesPerEU: 17
; Occupancy: 16
; WaveLimiterHint : 0
; COMPUTE_PGM_RSRC2:SCRATCH_EN: 0
; COMPUTE_PGM_RSRC2:USER_SGPR: 15
; COMPUTE_PGM_RSRC2:TRAP_HANDLER: 0
; COMPUTE_PGM_RSRC2:TGID_X_EN: 1
; COMPUTE_PGM_RSRC2:TGID_Y_EN: 0
; COMPUTE_PGM_RSRC2:TGID_Z_EN: 0
; COMPUTE_PGM_RSRC2:TIDIG_COMP_CNT: 0
	.text
	.p2alignl 7, 3214868480
	.fill 96, 4, 3214868480
	.type	__hip_cuid_599d44ac40bb367d,@object ; @__hip_cuid_599d44ac40bb367d
	.section	.bss,"aw",@nobits
	.globl	__hip_cuid_599d44ac40bb367d
__hip_cuid_599d44ac40bb367d:
	.byte	0                               ; 0x0
	.size	__hip_cuid_599d44ac40bb367d, 1

	.ident	"AMD clang version 19.0.0git (https://github.com/RadeonOpenCompute/llvm-project roc-6.4.0 25133 c7fe45cf4b819c5991fe208aaa96edf142730f1d)"
	.section	".note.GNU-stack","",@progbits
	.addrsig
	.addrsig_sym __hip_cuid_599d44ac40bb367d
	.amdgpu_metadata
---
amdhsa.kernels:
  - .args:
      - .actual_access:  read_only
        .address_space:  global
        .offset:         0
        .size:           8
        .value_kind:     global_buffer
      - .address_space:  global
        .offset:         8
        .size:           8
        .value_kind:     global_buffer
      - .actual_access:  read_only
        .address_space:  global
        .offset:         16
        .size:           8
        .value_kind:     global_buffer
      - .actual_access:  read_only
        .address_space:  global
        .offset:         24
        .size:           8
        .value_kind:     global_buffer
      - .actual_access:  write_only
        .address_space:  global
        .offset:         32
        .size:           8
        .value_kind:     global_buffer
      - .actual_access:  read_only
        .address_space:  global
        .offset:         40
        .size:           8
        .value_kind:     global_buffer
      - .offset:         48
        .size:           4
        .value_kind:     by_value
      - .offset:         52
        .size:           4
        .value_kind:     by_value
      - .offset:         56
        .size:           4
        .value_kind:     by_value
      - .offset:         64
        .size:           4
        .value_kind:     hidden_block_count_x
      - .offset:         68
        .size:           4
        .value_kind:     hidden_block_count_y
      - .offset:         72
        .size:           4
        .value_kind:     hidden_block_count_z
      - .offset:         76
        .size:           2
        .value_kind:     hidden_group_size_x
      - .offset:         78
        .size:           2
        .value_kind:     hidden_group_size_y
      - .offset:         80
        .size:           2
        .value_kind:     hidden_group_size_z
      - .offset:         82
        .size:           2
        .value_kind:     hidden_remainder_x
      - .offset:         84
        .size:           2
        .value_kind:     hidden_remainder_y
      - .offset:         86
        .size:           2
        .value_kind:     hidden_remainder_z
      - .offset:         104
        .size:           8
        .value_kind:     hidden_global_offset_x
      - .offset:         112
        .size:           8
        .value_kind:     hidden_global_offset_y
      - .offset:         120
        .size:           8
        .value_kind:     hidden_global_offset_z
      - .offset:         128
        .size:           2
        .value_kind:     hidden_grid_dims
    .group_segment_fixed_size: 32900
    .kernarg_segment_align: 8
    .kernarg_segment_size: 320
    .language:       OpenCL C
    .language_version:
      - 2
      - 0
    .max_flat_workgroup_size: 1024
    .name:           _Z24_residual_rms_vectorizedI7__half2Lb0EEvPK6__halfPS1_S3_PKfPT_S4_fii
    .private_segment_fixed_size: 0
    .sgpr_count:     20
    .sgpr_spill_count: 0
    .symbol:         _Z24_residual_rms_vectorizedI7__half2Lb0EEvPK6__halfPS1_S3_PKfPT_S4_fii.kd
    .uniform_work_group_size: 1
    .uses_dynamic_stack: false
    .vgpr_count:     25
    .vgpr_spill_count: 0
    .wavefront_size: 32
    .workgroup_processor_mode: 1
  - .args:
      - .actual_access:  read_only
        .address_space:  global
        .offset:         0
        .size:           8
        .value_kind:     global_buffer
      - .address_space:  global
        .offset:         8
        .size:           8
        .value_kind:     global_buffer
      - .actual_access:  read_only
        .address_space:  global
        .offset:         16
        .size:           8
        .value_kind:     global_buffer
      - .actual_access:  read_only
        .address_space:  global
        .offset:         24
        .size:           8
        .value_kind:     global_buffer
      - .actual_access:  write_only
        .address_space:  global
        .offset:         32
        .size:           8
        .value_kind:     global_buffer
      - .actual_access:  read_only
        .address_space:  global
        .offset:         40
        .size:           8
        .value_kind:     global_buffer
      - .offset:         48
        .size:           4
        .value_kind:     by_value
      - .offset:         52
        .size:           4
        .value_kind:     by_value
      - .offset:         56
        .size:           4
        .value_kind:     by_value
      - .offset:         64
        .size:           4
        .value_kind:     hidden_block_count_x
      - .offset:         68
        .size:           4
        .value_kind:     hidden_block_count_y
      - .offset:         72
        .size:           4
        .value_kind:     hidden_block_count_z
      - .offset:         76
        .size:           2
        .value_kind:     hidden_group_size_x
      - .offset:         78
        .size:           2
        .value_kind:     hidden_group_size_y
      - .offset:         80
        .size:           2
        .value_kind:     hidden_group_size_z
      - .offset:         82
        .size:           2
        .value_kind:     hidden_remainder_x
      - .offset:         84
        .size:           2
        .value_kind:     hidden_remainder_y
      - .offset:         86
        .size:           2
        .value_kind:     hidden_remainder_z
      - .offset:         104
        .size:           8
        .value_kind:     hidden_global_offset_x
      - .offset:         112
        .size:           8
        .value_kind:     hidden_global_offset_y
      - .offset:         120
        .size:           8
        .value_kind:     hidden_global_offset_z
      - .offset:         128
        .size:           2
        .value_kind:     hidden_grid_dims
    .group_segment_fixed_size: 132
    .kernarg_segment_align: 8
    .kernarg_segment_size: 320
    .language:       OpenCL C
    .language_version:
      - 2
      - 0
    .max_flat_workgroup_size: 1024
    .name:           _Z20_residual_rms_scalarI6__halfLb0EEvPKS0_PS0_S2_PKfPT_S3_fii
    .private_segment_fixed_size: 0
    .sgpr_count:     22
    .sgpr_spill_count: 0
    .symbol:         _Z20_residual_rms_scalarI6__halfLb0EEvPKS0_PS0_S2_PKfPT_S3_fii.kd
    .uniform_work_group_size: 1
    .uses_dynamic_stack: false
    .vgpr_count:     16
    .vgpr_spill_count: 0
    .wavefront_size: 32
    .workgroup_processor_mode: 1
  - .args:
      - .actual_access:  read_only
        .address_space:  global
        .offset:         0
        .size:           8
        .value_kind:     global_buffer
      - .address_space:  global
        .offset:         8
        .size:           8
        .value_kind:     global_buffer
      - .actual_access:  read_only
        .address_space:  global
        .offset:         16
        .size:           8
        .value_kind:     global_buffer
      - .actual_access:  read_only
        .address_space:  global
        .offset:         24
        .size:           8
        .value_kind:     global_buffer
      - .actual_access:  write_only
        .address_space:  global
        .offset:         32
        .size:           8
        .value_kind:     global_buffer
      - .actual_access:  write_only
        .address_space:  global
        .offset:         40
        .size:           8
        .value_kind:     global_buffer
      - .offset:         48
        .size:           4
        .value_kind:     by_value
      - .offset:         52
        .size:           4
        .value_kind:     by_value
      - .offset:         56
        .size:           4
        .value_kind:     by_value
      - .offset:         64
        .size:           4
        .value_kind:     hidden_block_count_x
      - .offset:         68
        .size:           4
        .value_kind:     hidden_block_count_y
      - .offset:         72
        .size:           4
        .value_kind:     hidden_block_count_z
      - .offset:         76
        .size:           2
        .value_kind:     hidden_group_size_x
      - .offset:         78
        .size:           2
        .value_kind:     hidden_group_size_y
      - .offset:         80
        .size:           2
        .value_kind:     hidden_group_size_z
      - .offset:         82
        .size:           2
        .value_kind:     hidden_remainder_x
      - .offset:         84
        .size:           2
        .value_kind:     hidden_remainder_y
      - .offset:         86
        .size:           2
        .value_kind:     hidden_remainder_z
      - .offset:         104
        .size:           8
        .value_kind:     hidden_global_offset_x
      - .offset:         112
        .size:           8
        .value_kind:     hidden_global_offset_y
      - .offset:         120
        .size:           8
        .value_kind:     hidden_global_offset_z
      - .offset:         128
        .size:           2
        .value_kind:     hidden_grid_dims
    .group_segment_fixed_size: 32900
    .kernarg_segment_align: 8
    .kernarg_segment_size: 320
    .language:       OpenCL C
    .language_version:
      - 2
      - 0
    .max_flat_workgroup_size: 1024
    .name:           _Z24_residual_rms_vectorizedItLb1EEvPK6__halfPS0_S2_PKfPT_S3_fii
    .private_segment_fixed_size: 0
    .sgpr_count:     27
    .sgpr_spill_count: 0
    .symbol:         _Z24_residual_rms_vectorizedItLb1EEvPK6__halfPS0_S2_PKfPT_S3_fii.kd
    .uniform_work_group_size: 1
    .uses_dynamic_stack: false
    .vgpr_count:     30
    .vgpr_spill_count: 0
    .wavefront_size: 32
    .workgroup_processor_mode: 1
  - .args:
      - .actual_access:  read_only
        .address_space:  global
        .offset:         0
        .size:           8
        .value_kind:     global_buffer
      - .address_space:  global
        .offset:         8
        .size:           8
        .value_kind:     global_buffer
      - .actual_access:  read_only
        .address_space:  global
        .offset:         16
        .size:           8
        .value_kind:     global_buffer
      - .actual_access:  read_only
        .address_space:  global
        .offset:         24
        .size:           8
        .value_kind:     global_buffer
      - .actual_access:  write_only
        .address_space:  global
        .offset:         32
        .size:           8
        .value_kind:     global_buffer
      - .actual_access:  write_only
        .address_space:  global
        .offset:         40
        .size:           8
        .value_kind:     global_buffer
      - .offset:         48
        .size:           4
        .value_kind:     by_value
      - .offset:         52
        .size:           4
        .value_kind:     by_value
      - .offset:         56
        .size:           4
        .value_kind:     by_value
      - .offset:         64
        .size:           4
        .value_kind:     hidden_block_count_x
      - .offset:         68
        .size:           4
        .value_kind:     hidden_block_count_y
      - .offset:         72
        .size:           4
        .value_kind:     hidden_block_count_z
      - .offset:         76
        .size:           2
        .value_kind:     hidden_group_size_x
      - .offset:         78
        .size:           2
        .value_kind:     hidden_group_size_y
      - .offset:         80
        .size:           2
        .value_kind:     hidden_group_size_z
      - .offset:         82
        .size:           2
        .value_kind:     hidden_remainder_x
      - .offset:         84
        .size:           2
        .value_kind:     hidden_remainder_y
      - .offset:         86
        .size:           2
        .value_kind:     hidden_remainder_z
      - .offset:         104
        .size:           8
        .value_kind:     hidden_global_offset_x
      - .offset:         112
        .size:           8
        .value_kind:     hidden_global_offset_y
      - .offset:         120
        .size:           8
        .value_kind:     hidden_global_offset_z
      - .offset:         128
        .size:           2
        .value_kind:     hidden_grid_dims
    .group_segment_fixed_size: 132
    .kernarg_segment_align: 8
    .kernarg_segment_size: 320
    .language:       OpenCL C
    .language_version:
      - 2
      - 0
    .max_flat_workgroup_size: 1024
    .name:           _Z20_residual_rms_scalarIhLb1EEvPK6__halfPS0_S2_PKfPT_S3_fii
    .private_segment_fixed_size: 0
    .sgpr_count:     28
    .sgpr_spill_count: 0
    .symbol:         _Z20_residual_rms_scalarIhLb1EEvPK6__halfPS0_S2_PKfPT_S3_fii.kd
    .uniform_work_group_size: 1
    .uses_dynamic_stack: false
    .vgpr_count:     17
    .vgpr_spill_count: 0
    .wavefront_size: 32
    .workgroup_processor_mode: 1
amdhsa.target:   amdgcn-amd-amdhsa--gfx1100
amdhsa.version:
  - 1
  - 2
...

	.end_amdgpu_metadata
